;; amdgpu-corpus repo=ROCm/rocSPARSE kind=compiled arch=gfx1100 opt=O3
	.text
	.amdgcn_target "amdgcn-amd-amdhsa--gfx1100"
	.amdhsa_code_object_version 6
	.section	.text._ZN9rocsparseL11roti_kernelILj512EifEEvT0_PT1_PKS1_S3_NS_24const_host_device_scalarIS2_EES7_21rocsparse_index_base_b,"axG",@progbits,_ZN9rocsparseL11roti_kernelILj512EifEEvT0_PT1_PKS1_S3_NS_24const_host_device_scalarIS2_EES7_21rocsparse_index_base_b,comdat
	.globl	_ZN9rocsparseL11roti_kernelILj512EifEEvT0_PT1_PKS1_S3_NS_24const_host_device_scalarIS2_EES7_21rocsparse_index_base_b ; -- Begin function _ZN9rocsparseL11roti_kernelILj512EifEEvT0_PT1_PKS1_S3_NS_24const_host_device_scalarIS2_EES7_21rocsparse_index_base_b
	.p2align	8
	.type	_ZN9rocsparseL11roti_kernelILj512EifEEvT0_PT1_PKS1_S3_NS_24const_host_device_scalarIS2_EES7_21rocsparse_index_base_b,@function
_ZN9rocsparseL11roti_kernelILj512EifEEvT0_PT1_PKS1_S3_NS_24const_host_device_scalarIS2_EES7_21rocsparse_index_base_b: ; @_ZN9rocsparseL11roti_kernelILj512EifEEvT0_PT1_PKS1_S3_NS_24const_host_device_scalarIS2_EES7_21rocsparse_index_base_b
; %bb.0:
	s_clause 0x1
	s_load_b64 s[2:3], s[0:1], 0x30
	s_load_b128 s[4:7], s[0:1], 0x20
	s_waitcnt lgkmcnt(0)
	s_bitcmp1_b32 s3, 0
	s_cselect_b32 s3, -1, 0
	s_delay_alu instid0(SALU_CYCLE_1)
	s_and_b32 vcc_lo, exec_lo, s3
	s_xor_b32 s3, s3, -1
	s_cbranch_vccnz .LBB0_2
; %bb.1:
	s_load_b32 s4, s[4:5], 0x0
.LBB0_2:
	s_and_not1_b32 vcc_lo, exec_lo, s3
	s_cbranch_vccnz .LBB0_4
; %bb.3:
	s_load_b32 s6, s[6:7], 0x0
.LBB0_4:
	s_waitcnt lgkmcnt(0)
	v_cmp_eq_f32_e64 s3, s4, 1.0
	v_cmp_eq_f32_e64 s5, s6, 0
	s_delay_alu instid0(VALU_DEP_1) | instskip(NEXT) | instid1(SALU_CYCLE_1)
	s_and_b32 s3, s3, s5
	s_and_b32 vcc_lo, exec_lo, s3
	s_cbranch_vccnz .LBB0_7
; %bb.5:
	s_load_b32 s3, s[0:1], 0x0
	v_lshl_or_b32 v0, s15, 9, v0
	s_waitcnt lgkmcnt(0)
	s_delay_alu instid0(VALU_DEP_1)
	v_cmp_gt_i32_e32 vcc_lo, s3, v0
	s_and_saveexec_b32 s3, vcc_lo
	s_cbranch_execz .LBB0_7
; %bb.6:
	s_load_b128 s[8:11], s[0:1], 0x8
	v_ashrrev_i32_e32 v1, 31, v0
	s_load_b64 s[0:1], s[0:1], 0x18
	s_delay_alu instid0(VALU_DEP_1) | instskip(SKIP_1) | instid1(VALU_DEP_1)
	v_lshlrev_b64 v[0:1], 2, v[0:1]
	s_waitcnt lgkmcnt(0)
	v_add_co_u32 v2, vcc_lo, s10, v0
	s_delay_alu instid0(VALU_DEP_2) | instskip(SKIP_3) | instid1(VALU_DEP_1)
	v_add_co_ci_u32_e32 v3, vcc_lo, s11, v1, vcc_lo
	global_load_b32 v2, v[2:3], off
	s_waitcnt vmcnt(0)
	v_subrev_nc_u32_e32 v2, s2, v2
	v_ashrrev_i32_e32 v3, 31, v2
	s_delay_alu instid0(VALU_DEP_1) | instskip(NEXT) | instid1(VALU_DEP_1)
	v_lshlrev_b64 v[2:3], 2, v[2:3]
	v_add_co_u32 v2, vcc_lo, s0, v2
	s_delay_alu instid0(VALU_DEP_2)
	v_add_co_ci_u32_e32 v3, vcc_lo, s1, v3, vcc_lo
	v_add_co_u32 v0, vcc_lo, s8, v0
	v_add_co_ci_u32_e32 v1, vcc_lo, s9, v1, vcc_lo
	global_load_b32 v4, v[2:3], off
	global_load_b32 v5, v[0:1], off
	s_waitcnt vmcnt(0)
	v_dual_mul_f32 v6, s6, v4 :: v_dual_mul_f32 v7, s6, v5
	s_delay_alu instid0(VALU_DEP_1) | instskip(NEXT) | instid1(VALU_DEP_2)
	v_fmac_f32_e32 v6, s4, v5
	v_fma_f32 v4, s4, v4, -v7
	global_store_b32 v[0:1], v6, off
	global_store_b32 v[2:3], v4, off
.LBB0_7:
	s_nop 0
	s_sendmsg sendmsg(MSG_DEALLOC_VGPRS)
	s_endpgm
	.section	.rodata,"a",@progbits
	.p2align	6, 0x0
	.amdhsa_kernel _ZN9rocsparseL11roti_kernelILj512EifEEvT0_PT1_PKS1_S3_NS_24const_host_device_scalarIS2_EES7_21rocsparse_index_base_b
		.amdhsa_group_segment_fixed_size 0
		.amdhsa_private_segment_fixed_size 0
		.amdhsa_kernarg_size 56
		.amdhsa_user_sgpr_count 15
		.amdhsa_user_sgpr_dispatch_ptr 0
		.amdhsa_user_sgpr_queue_ptr 0
		.amdhsa_user_sgpr_kernarg_segment_ptr 1
		.amdhsa_user_sgpr_dispatch_id 0
		.amdhsa_user_sgpr_private_segment_size 0
		.amdhsa_wavefront_size32 1
		.amdhsa_uses_dynamic_stack 0
		.amdhsa_enable_private_segment 0
		.amdhsa_system_sgpr_workgroup_id_x 1
		.amdhsa_system_sgpr_workgroup_id_y 0
		.amdhsa_system_sgpr_workgroup_id_z 0
		.amdhsa_system_sgpr_workgroup_info 0
		.amdhsa_system_vgpr_workitem_id 0
		.amdhsa_next_free_vgpr 8
		.amdhsa_next_free_sgpr 16
		.amdhsa_reserve_vcc 1
		.amdhsa_float_round_mode_32 0
		.amdhsa_float_round_mode_16_64 0
		.amdhsa_float_denorm_mode_32 3
		.amdhsa_float_denorm_mode_16_64 3
		.amdhsa_dx10_clamp 1
		.amdhsa_ieee_mode 1
		.amdhsa_fp16_overflow 0
		.amdhsa_workgroup_processor_mode 1
		.amdhsa_memory_ordered 1
		.amdhsa_forward_progress 0
		.amdhsa_shared_vgpr_count 0
		.amdhsa_exception_fp_ieee_invalid_op 0
		.amdhsa_exception_fp_denorm_src 0
		.amdhsa_exception_fp_ieee_div_zero 0
		.amdhsa_exception_fp_ieee_overflow 0
		.amdhsa_exception_fp_ieee_underflow 0
		.amdhsa_exception_fp_ieee_inexact 0
		.amdhsa_exception_int_div_zero 0
	.end_amdhsa_kernel
	.section	.text._ZN9rocsparseL11roti_kernelILj512EifEEvT0_PT1_PKS1_S3_NS_24const_host_device_scalarIS2_EES7_21rocsparse_index_base_b,"axG",@progbits,_ZN9rocsparseL11roti_kernelILj512EifEEvT0_PT1_PKS1_S3_NS_24const_host_device_scalarIS2_EES7_21rocsparse_index_base_b,comdat
.Lfunc_end0:
	.size	_ZN9rocsparseL11roti_kernelILj512EifEEvT0_PT1_PKS1_S3_NS_24const_host_device_scalarIS2_EES7_21rocsparse_index_base_b, .Lfunc_end0-_ZN9rocsparseL11roti_kernelILj512EifEEvT0_PT1_PKS1_S3_NS_24const_host_device_scalarIS2_EES7_21rocsparse_index_base_b
                                        ; -- End function
	.section	.AMDGPU.csdata,"",@progbits
; Kernel info:
; codeLenInByte = 328
; NumSgprs: 18
; NumVgprs: 8
; ScratchSize: 0
; MemoryBound: 0
; FloatMode: 240
; IeeeMode: 1
; LDSByteSize: 0 bytes/workgroup (compile time only)
; SGPRBlocks: 2
; VGPRBlocks: 0
; NumSGPRsForWavesPerEU: 18
; NumVGPRsForWavesPerEU: 8
; Occupancy: 16
; WaveLimiterHint : 1
; COMPUTE_PGM_RSRC2:SCRATCH_EN: 0
; COMPUTE_PGM_RSRC2:USER_SGPR: 15
; COMPUTE_PGM_RSRC2:TRAP_HANDLER: 0
; COMPUTE_PGM_RSRC2:TGID_X_EN: 1
; COMPUTE_PGM_RSRC2:TGID_Y_EN: 0
; COMPUTE_PGM_RSRC2:TGID_Z_EN: 0
; COMPUTE_PGM_RSRC2:TIDIG_COMP_CNT: 0
	.section	.text._ZN9rocsparseL11roti_kernelILj512Ei21rocsparse_complex_numIfEEEvT0_PT1_PKS3_S5_NS_24const_host_device_scalarIS4_EES9_21rocsparse_index_base_b,"axG",@progbits,_ZN9rocsparseL11roti_kernelILj512Ei21rocsparse_complex_numIfEEEvT0_PT1_PKS3_S5_NS_24const_host_device_scalarIS4_EES9_21rocsparse_index_base_b,comdat
	.globl	_ZN9rocsparseL11roti_kernelILj512Ei21rocsparse_complex_numIfEEEvT0_PT1_PKS3_S5_NS_24const_host_device_scalarIS4_EES9_21rocsparse_index_base_b ; -- Begin function _ZN9rocsparseL11roti_kernelILj512Ei21rocsparse_complex_numIfEEEvT0_PT1_PKS3_S5_NS_24const_host_device_scalarIS4_EES9_21rocsparse_index_base_b
	.p2align	8
	.type	_ZN9rocsparseL11roti_kernelILj512Ei21rocsparse_complex_numIfEEEvT0_PT1_PKS3_S5_NS_24const_host_device_scalarIS4_EES9_21rocsparse_index_base_b,@function
_ZN9rocsparseL11roti_kernelILj512Ei21rocsparse_complex_numIfEEEvT0_PT1_PKS3_S5_NS_24const_host_device_scalarIS4_EES9_21rocsparse_index_base_b: ; @_ZN9rocsparseL11roti_kernelILj512Ei21rocsparse_complex_numIfEEEvT0_PT1_PKS3_S5_NS_24const_host_device_scalarIS4_EES9_21rocsparse_index_base_b
; %bb.0:
	s_clause 0x2
	s_load_b64 s[8:9], s[0:1], 0x30
	s_load_b64 s[2:3], s[0:1], 0x20
	s_load_b128 s[4:7], s[0:1], 0x20
	s_waitcnt lgkmcnt(0)
	s_bitcmp1_b32 s9, 0
	v_mov_b32_e32 v2, s2
	s_cselect_b32 s9, -1, 0
	s_delay_alu instid0(SALU_CYCLE_1)
	s_and_b32 vcc_lo, exec_lo, s9
	s_xor_b32 s2, s9, -1
	s_cbranch_vccz .LBB1_11
; %bb.1:
	v_cndmask_b32_e64 v1, 0, 1, s2
	v_mov_b32_e32 v3, s3
	s_and_not1_b32 vcc_lo, exec_lo, s2
	s_cbranch_vccz .LBB1_12
.LBB1_2:
	s_delay_alu instid0(VALU_DEP_2)
	v_cmp_ne_u32_e32 vcc_lo, 1, v1
	v_mov_b32_e32 v4, s6
	s_cbranch_vccz .LBB1_13
.LBB1_3:
	v_cmp_ne_u32_e32 vcc_lo, 1, v1
	v_mov_b32_e32 v5, s7
	s_cbranch_vccnz .LBB1_5
.LBB1_4:
	v_dual_mov_b32 v5, s6 :: v_dual_mov_b32 v6, s7
	flat_load_b32 v5, v[5:6] offset:4
.LBB1_5:
	s_waitcnt vmcnt(0) lgkmcnt(0)
	v_cmp_eq_f32_e32 vcc_lo, 1.0, v2
	v_cmp_eq_f32_e64 s2, 0, v3
	s_delay_alu instid0(VALU_DEP_1)
	s_and_b32 s4, vcc_lo, s2
	s_mov_b32 s2, -1
	s_and_saveexec_b32 s3, s4
; %bb.6:
	v_cmp_neq_f32_e32 vcc_lo, 0, v4
	v_cmp_neq_f32_e64 s2, 0, v5
	s_delay_alu instid0(VALU_DEP_1) | instskip(NEXT) | instid1(SALU_CYCLE_1)
	s_or_b32 s2, vcc_lo, s2
	s_or_not1_b32 s2, s2, exec_lo
; %bb.7:
	s_or_b32 exec_lo, exec_lo, s3
	s_and_saveexec_b32 s3, s2
	s_cbranch_execz .LBB1_10
; %bb.8:
	s_load_b32 s2, s[0:1], 0x0
	v_lshl_or_b32 v0, s15, 9, v0
	s_waitcnt lgkmcnt(0)
	s_delay_alu instid0(VALU_DEP_1)
	v_cmp_gt_i32_e32 vcc_lo, s2, v0
	s_and_b32 exec_lo, exec_lo, vcc_lo
	s_cbranch_execz .LBB1_10
; %bb.9:
	s_load_b128 s[4:7], s[0:1], 0x8
	v_ashrrev_i32_e32 v1, 31, v0
	s_load_b64 s[0:1], s[0:1], 0x18
	s_delay_alu instid0(VALU_DEP_1) | instskip(SKIP_2) | instid1(VALU_DEP_2)
	v_lshlrev_b64 v[6:7], 2, v[0:1]
	v_lshlrev_b64 v[0:1], 3, v[0:1]
	s_waitcnt lgkmcnt(0)
	v_add_co_u32 v6, vcc_lo, s6, v6
	s_delay_alu instid0(VALU_DEP_3) | instskip(NEXT) | instid1(VALU_DEP_3)
	v_add_co_ci_u32_e32 v7, vcc_lo, s7, v7, vcc_lo
	v_add_co_u32 v0, vcc_lo, s4, v0
	s_delay_alu instid0(VALU_DEP_4)
	v_add_co_ci_u32_e32 v1, vcc_lo, s5, v1, vcc_lo
	global_load_b32 v6, v[6:7], off
	global_load_b64 v[8:9], v[0:1], off
	s_waitcnt vmcnt(1)
	v_subrev_nc_u32_e32 v6, s8, v6
	s_waitcnt vmcnt(0)
	v_mul_f32_e64 v12, v9, -v3
	v_mul_f32_e64 v14, v9, -v5
	s_delay_alu instid0(VALU_DEP_3) | instskip(NEXT) | instid1(VALU_DEP_2)
	v_ashrrev_i32_e32 v7, 31, v6
	v_dual_mul_f32 v13, v2, v9 :: v_dual_fmac_f32 v14, v4, v8
	s_delay_alu instid0(VALU_DEP_2) | instskip(NEXT) | instid1(VALU_DEP_1)
	v_lshlrev_b64 v[6:7], 3, v[6:7]
	v_add_co_u32 v6, vcc_lo, s0, v6
	s_delay_alu instid0(VALU_DEP_2)
	v_add_co_ci_u32_e32 v7, vcc_lo, s1, v7, vcc_lo
	global_load_b64 v[10:11], v[6:7], off
	s_waitcnt vmcnt(0)
	v_mul_f32_e64 v15, v11, -v5
	v_mul_f32_e32 v16, v11, v4
	v_fmac_f32_e32 v12, v2, v8
	v_mul_f32_e64 v17, v11, -v3
	v_mul_f32_e32 v11, v2, v11
	v_fmac_f32_e32 v15, v4, v10
	v_mul_f32_e32 v9, v9, v4
	v_dual_fmac_f32 v13, v3, v8 :: v_dual_fmac_f32 v16, v5, v10
	v_fmac_f32_e32 v17, v2, v10
	s_delay_alu instid0(VALU_DEP_4) | instskip(NEXT) | instid1(VALU_DEP_4)
	v_dual_fmac_f32 v11, v3, v10 :: v_dual_add_f32 v2, v12, v15
	v_fmac_f32_e32 v9, v5, v8
	s_delay_alu instid0(VALU_DEP_4) | instskip(NEXT) | instid1(VALU_DEP_2)
	v_add_f32_e32 v3, v13, v16
	v_dual_sub_f32 v4, v17, v14 :: v_dual_sub_f32 v5, v11, v9
	global_store_b64 v[0:1], v[2:3], off
	global_store_b64 v[6:7], v[4:5], off
.LBB1_10:
	s_nop 0
	s_sendmsg sendmsg(MSG_DEALLOC_VGPRS)
	s_endpgm
.LBB1_11:
	v_dual_mov_b32 v1, s4 :: v_dual_mov_b32 v2, s5
	flat_load_b32 v2, v[1:2]
	v_cndmask_b32_e64 v1, 0, 1, s2
	v_mov_b32_e32 v3, s3
	s_and_not1_b32 vcc_lo, exec_lo, s2
	s_cbranch_vccnz .LBB1_2
.LBB1_12:
	v_dual_mov_b32 v3, s4 :: v_dual_mov_b32 v4, s5
	flat_load_b32 v3, v[3:4] offset:4
	v_cmp_ne_u32_e32 vcc_lo, 1, v1
	v_mov_b32_e32 v4, s6
	s_cbranch_vccnz .LBB1_3
.LBB1_13:
	v_dual_mov_b32 v4, s6 :: v_dual_mov_b32 v5, s7
	flat_load_b32 v4, v[4:5]
	v_cmp_ne_u32_e32 vcc_lo, 1, v1
	v_mov_b32_e32 v5, s7
	s_cbranch_vccz .LBB1_4
	s_branch .LBB1_5
	.section	.rodata,"a",@progbits
	.p2align	6, 0x0
	.amdhsa_kernel _ZN9rocsparseL11roti_kernelILj512Ei21rocsparse_complex_numIfEEEvT0_PT1_PKS3_S5_NS_24const_host_device_scalarIS4_EES9_21rocsparse_index_base_b
		.amdhsa_group_segment_fixed_size 0
		.amdhsa_private_segment_fixed_size 0
		.amdhsa_kernarg_size 56
		.amdhsa_user_sgpr_count 15
		.amdhsa_user_sgpr_dispatch_ptr 0
		.amdhsa_user_sgpr_queue_ptr 0
		.amdhsa_user_sgpr_kernarg_segment_ptr 1
		.amdhsa_user_sgpr_dispatch_id 0
		.amdhsa_user_sgpr_private_segment_size 0
		.amdhsa_wavefront_size32 1
		.amdhsa_uses_dynamic_stack 0
		.amdhsa_enable_private_segment 0
		.amdhsa_system_sgpr_workgroup_id_x 1
		.amdhsa_system_sgpr_workgroup_id_y 0
		.amdhsa_system_sgpr_workgroup_id_z 0
		.amdhsa_system_sgpr_workgroup_info 0
		.amdhsa_system_vgpr_workitem_id 0
		.amdhsa_next_free_vgpr 18
		.amdhsa_next_free_sgpr 16
		.amdhsa_reserve_vcc 1
		.amdhsa_float_round_mode_32 0
		.amdhsa_float_round_mode_16_64 0
		.amdhsa_float_denorm_mode_32 3
		.amdhsa_float_denorm_mode_16_64 3
		.amdhsa_dx10_clamp 1
		.amdhsa_ieee_mode 1
		.amdhsa_fp16_overflow 0
		.amdhsa_workgroup_processor_mode 1
		.amdhsa_memory_ordered 1
		.amdhsa_forward_progress 0
		.amdhsa_shared_vgpr_count 0
		.amdhsa_exception_fp_ieee_invalid_op 0
		.amdhsa_exception_fp_denorm_src 0
		.amdhsa_exception_fp_ieee_div_zero 0
		.amdhsa_exception_fp_ieee_overflow 0
		.amdhsa_exception_fp_ieee_underflow 0
		.amdhsa_exception_fp_ieee_inexact 0
		.amdhsa_exception_int_div_zero 0
	.end_amdhsa_kernel
	.section	.text._ZN9rocsparseL11roti_kernelILj512Ei21rocsparse_complex_numIfEEEvT0_PT1_PKS3_S5_NS_24const_host_device_scalarIS4_EES9_21rocsparse_index_base_b,"axG",@progbits,_ZN9rocsparseL11roti_kernelILj512Ei21rocsparse_complex_numIfEEEvT0_PT1_PKS3_S5_NS_24const_host_device_scalarIS4_EES9_21rocsparse_index_base_b,comdat
.Lfunc_end1:
	.size	_ZN9rocsparseL11roti_kernelILj512Ei21rocsparse_complex_numIfEEEvT0_PT1_PKS3_S5_NS_24const_host_device_scalarIS4_EES9_21rocsparse_index_base_b, .Lfunc_end1-_ZN9rocsparseL11roti_kernelILj512Ei21rocsparse_complex_numIfEEEvT0_PT1_PKS3_S5_NS_24const_host_device_scalarIS4_EES9_21rocsparse_index_base_b
                                        ; -- End function
	.section	.AMDGPU.csdata,"",@progbits
; Kernel info:
; codeLenInByte = 608
; NumSgprs: 18
; NumVgprs: 18
; ScratchSize: 0
; MemoryBound: 0
; FloatMode: 240
; IeeeMode: 1
; LDSByteSize: 0 bytes/workgroup (compile time only)
; SGPRBlocks: 2
; VGPRBlocks: 2
; NumSGPRsForWavesPerEU: 18
; NumVGPRsForWavesPerEU: 18
; Occupancy: 16
; WaveLimiterHint : 1
; COMPUTE_PGM_RSRC2:SCRATCH_EN: 0
; COMPUTE_PGM_RSRC2:USER_SGPR: 15
; COMPUTE_PGM_RSRC2:TRAP_HANDLER: 0
; COMPUTE_PGM_RSRC2:TGID_X_EN: 1
; COMPUTE_PGM_RSRC2:TGID_Y_EN: 0
; COMPUTE_PGM_RSRC2:TGID_Z_EN: 0
; COMPUTE_PGM_RSRC2:TIDIG_COMP_CNT: 0
	.section	.text._ZN9rocsparseL11roti_kernelILj512EidEEvT0_PT1_PKS1_S3_NS_24const_host_device_scalarIS2_EES7_21rocsparse_index_base_b,"axG",@progbits,_ZN9rocsparseL11roti_kernelILj512EidEEvT0_PT1_PKS1_S3_NS_24const_host_device_scalarIS2_EES7_21rocsparse_index_base_b,comdat
	.globl	_ZN9rocsparseL11roti_kernelILj512EidEEvT0_PT1_PKS1_S3_NS_24const_host_device_scalarIS2_EES7_21rocsparse_index_base_b ; -- Begin function _ZN9rocsparseL11roti_kernelILj512EidEEvT0_PT1_PKS1_S3_NS_24const_host_device_scalarIS2_EES7_21rocsparse_index_base_b
	.p2align	8
	.type	_ZN9rocsparseL11roti_kernelILj512EidEEvT0_PT1_PKS1_S3_NS_24const_host_device_scalarIS2_EES7_21rocsparse_index_base_b,@function
_ZN9rocsparseL11roti_kernelILj512EidEEvT0_PT1_PKS1_S3_NS_24const_host_device_scalarIS2_EES7_21rocsparse_index_base_b: ; @_ZN9rocsparseL11roti_kernelILj512EidEEvT0_PT1_PKS1_S3_NS_24const_host_device_scalarIS2_EES7_21rocsparse_index_base_b
; %bb.0:
	s_clause 0x1
	s_load_b64 s[8:9], s[0:1], 0x30
	s_load_b128 s[4:7], s[0:1], 0x20
	s_waitcnt lgkmcnt(0)
	s_bitcmp1_b32 s9, 0
	v_dual_mov_b32 v1, s4 :: v_dual_mov_b32 v2, s5
	s_cselect_b32 s2, -1, 0
	s_delay_alu instid0(SALU_CYCLE_1)
	s_and_b32 vcc_lo, exec_lo, s2
	s_xor_b32 s2, s2, -1
	s_cbranch_vccnz .LBB2_2
; %bb.1:
	v_dual_mov_b32 v1, s4 :: v_dual_mov_b32 v2, s5
	flat_load_b64 v[1:2], v[1:2]
.LBB2_2:
	v_dual_mov_b32 v3, s6 :: v_dual_mov_b32 v4, s7
	s_and_not1_b32 vcc_lo, exec_lo, s2
	s_cbranch_vccnz .LBB2_4
; %bb.3:
	v_dual_mov_b32 v3, s6 :: v_dual_mov_b32 v4, s7
	flat_load_b64 v[3:4], v[3:4]
.LBB2_4:
	s_waitcnt vmcnt(0) lgkmcnt(0)
	v_cmp_neq_f64_e32 vcc_lo, 1.0, v[1:2]
	v_cmp_neq_f64_e64 s2, 0, v[3:4]
	s_delay_alu instid0(VALU_DEP_1) | instskip(NEXT) | instid1(SALU_CYCLE_1)
	s_or_b32 s2, vcc_lo, s2
	s_and_saveexec_b32 s3, s2
	s_cbranch_execz .LBB2_7
; %bb.5:
	s_load_b32 s2, s[0:1], 0x0
	v_lshl_or_b32 v5, s15, 9, v0
	s_waitcnt lgkmcnt(0)
	s_delay_alu instid0(VALU_DEP_1)
	v_cmp_gt_i32_e32 vcc_lo, s2, v5
	s_and_b32 exec_lo, exec_lo, vcc_lo
	s_cbranch_execz .LBB2_7
; %bb.6:
	s_load_b128 s[4:7], s[0:1], 0x8
	v_ashrrev_i32_e32 v6, 31, v5
	s_load_b64 s[0:1], s[0:1], 0x18
	s_delay_alu instid0(VALU_DEP_1) | instskip(SKIP_2) | instid1(VALU_DEP_2)
	v_lshlrev_b64 v[7:8], 2, v[5:6]
	v_lshlrev_b64 v[5:6], 3, v[5:6]
	s_waitcnt lgkmcnt(0)
	v_add_co_u32 v7, vcc_lo, s6, v7
	s_delay_alu instid0(VALU_DEP_3) | instskip(SKIP_3) | instid1(VALU_DEP_1)
	v_add_co_ci_u32_e32 v8, vcc_lo, s7, v8, vcc_lo
	global_load_b32 v0, v[7:8], off
	s_waitcnt vmcnt(0)
	v_subrev_nc_u32_e32 v7, s8, v0
	v_ashrrev_i32_e32 v8, 31, v7
	s_delay_alu instid0(VALU_DEP_1) | instskip(NEXT) | instid1(VALU_DEP_1)
	v_lshlrev_b64 v[7:8], 3, v[7:8]
	v_add_co_u32 v7, vcc_lo, s0, v7
	s_delay_alu instid0(VALU_DEP_2)
	v_add_co_ci_u32_e32 v8, vcc_lo, s1, v8, vcc_lo
	v_add_co_u32 v5, vcc_lo, s4, v5
	v_add_co_ci_u32_e32 v6, vcc_lo, s5, v6, vcc_lo
	global_load_b64 v[9:10], v[7:8], off
	global_load_b64 v[11:12], v[5:6], off
	s_waitcnt vmcnt(1)
	v_mul_f64 v[13:14], v[3:4], v[9:10]
	s_waitcnt vmcnt(0)
	v_mul_f64 v[3:4], v[3:4], v[11:12]
	s_delay_alu instid0(VALU_DEP_2) | instskip(NEXT) | instid1(VALU_DEP_2)
	v_fma_f64 v[11:12], v[1:2], v[11:12], v[13:14]
	v_fma_f64 v[0:1], v[1:2], v[9:10], -v[3:4]
	global_store_b64 v[5:6], v[11:12], off
	global_store_b64 v[7:8], v[0:1], off
.LBB2_7:
	s_nop 0
	s_sendmsg sendmsg(MSG_DEALLOC_VGPRS)
	s_endpgm
	.section	.rodata,"a",@progbits
	.p2align	6, 0x0
	.amdhsa_kernel _ZN9rocsparseL11roti_kernelILj512EidEEvT0_PT1_PKS1_S3_NS_24const_host_device_scalarIS2_EES7_21rocsparse_index_base_b
		.amdhsa_group_segment_fixed_size 0
		.amdhsa_private_segment_fixed_size 0
		.amdhsa_kernarg_size 56
		.amdhsa_user_sgpr_count 15
		.amdhsa_user_sgpr_dispatch_ptr 0
		.amdhsa_user_sgpr_queue_ptr 0
		.amdhsa_user_sgpr_kernarg_segment_ptr 1
		.amdhsa_user_sgpr_dispatch_id 0
		.amdhsa_user_sgpr_private_segment_size 0
		.amdhsa_wavefront_size32 1
		.amdhsa_uses_dynamic_stack 0
		.amdhsa_enable_private_segment 0
		.amdhsa_system_sgpr_workgroup_id_x 1
		.amdhsa_system_sgpr_workgroup_id_y 0
		.amdhsa_system_sgpr_workgroup_id_z 0
		.amdhsa_system_sgpr_workgroup_info 0
		.amdhsa_system_vgpr_workitem_id 0
		.amdhsa_next_free_vgpr 15
		.amdhsa_next_free_sgpr 16
		.amdhsa_reserve_vcc 1
		.amdhsa_float_round_mode_32 0
		.amdhsa_float_round_mode_16_64 0
		.amdhsa_float_denorm_mode_32 3
		.amdhsa_float_denorm_mode_16_64 3
		.amdhsa_dx10_clamp 1
		.amdhsa_ieee_mode 1
		.amdhsa_fp16_overflow 0
		.amdhsa_workgroup_processor_mode 1
		.amdhsa_memory_ordered 1
		.amdhsa_forward_progress 0
		.amdhsa_shared_vgpr_count 0
		.amdhsa_exception_fp_ieee_invalid_op 0
		.amdhsa_exception_fp_denorm_src 0
		.amdhsa_exception_fp_ieee_div_zero 0
		.amdhsa_exception_fp_ieee_overflow 0
		.amdhsa_exception_fp_ieee_underflow 0
		.amdhsa_exception_fp_ieee_inexact 0
		.amdhsa_exception_int_div_zero 0
	.end_amdhsa_kernel
	.section	.text._ZN9rocsparseL11roti_kernelILj512EidEEvT0_PT1_PKS1_S3_NS_24const_host_device_scalarIS2_EES7_21rocsparse_index_base_b,"axG",@progbits,_ZN9rocsparseL11roti_kernelILj512EidEEvT0_PT1_PKS1_S3_NS_24const_host_device_scalarIS2_EES7_21rocsparse_index_base_b,comdat
.Lfunc_end2:
	.size	_ZN9rocsparseL11roti_kernelILj512EidEEvT0_PT1_PKS1_S3_NS_24const_host_device_scalarIS2_EES7_21rocsparse_index_base_b, .Lfunc_end2-_ZN9rocsparseL11roti_kernelILj512EidEEvT0_PT1_PKS1_S3_NS_24const_host_device_scalarIS2_EES7_21rocsparse_index_base_b
                                        ; -- End function
	.section	.AMDGPU.csdata,"",@progbits
; Kernel info:
; codeLenInByte = 380
; NumSgprs: 18
; NumVgprs: 15
; ScratchSize: 0
; MemoryBound: 0
; FloatMode: 240
; IeeeMode: 1
; LDSByteSize: 0 bytes/workgroup (compile time only)
; SGPRBlocks: 2
; VGPRBlocks: 1
; NumSGPRsForWavesPerEU: 18
; NumVGPRsForWavesPerEU: 15
; Occupancy: 16
; WaveLimiterHint : 1
; COMPUTE_PGM_RSRC2:SCRATCH_EN: 0
; COMPUTE_PGM_RSRC2:USER_SGPR: 15
; COMPUTE_PGM_RSRC2:TRAP_HANDLER: 0
; COMPUTE_PGM_RSRC2:TGID_X_EN: 1
; COMPUTE_PGM_RSRC2:TGID_Y_EN: 0
; COMPUTE_PGM_RSRC2:TGID_Z_EN: 0
; COMPUTE_PGM_RSRC2:TIDIG_COMP_CNT: 0
	.section	.text._ZN9rocsparseL11roti_kernelILj512Ei21rocsparse_complex_numIdEEEvT0_PT1_PKS3_S5_NS_24const_host_device_scalarIS4_EES9_21rocsparse_index_base_b,"axG",@progbits,_ZN9rocsparseL11roti_kernelILj512Ei21rocsparse_complex_numIdEEEvT0_PT1_PKS3_S5_NS_24const_host_device_scalarIS4_EES9_21rocsparse_index_base_b,comdat
	.globl	_ZN9rocsparseL11roti_kernelILj512Ei21rocsparse_complex_numIdEEEvT0_PT1_PKS3_S5_NS_24const_host_device_scalarIS4_EES9_21rocsparse_index_base_b ; -- Begin function _ZN9rocsparseL11roti_kernelILj512Ei21rocsparse_complex_numIdEEEvT0_PT1_PKS3_S5_NS_24const_host_device_scalarIS4_EES9_21rocsparse_index_base_b
	.p2align	8
	.type	_ZN9rocsparseL11roti_kernelILj512Ei21rocsparse_complex_numIdEEEvT0_PT1_PKS3_S5_NS_24const_host_device_scalarIS4_EES9_21rocsparse_index_base_b,@function
_ZN9rocsparseL11roti_kernelILj512Ei21rocsparse_complex_numIdEEEvT0_PT1_PKS3_S5_NS_24const_host_device_scalarIS4_EES9_21rocsparse_index_base_b: ; @_ZN9rocsparseL11roti_kernelILj512Ei21rocsparse_complex_numIdEEEvT0_PT1_PKS3_S5_NS_24const_host_device_scalarIS4_EES9_21rocsparse_index_base_b
; %bb.0:
	s_clause 0x1
	s_load_b64 s[12:13], s[2:3], 0x40
	s_load_b256 s[4:11], s[2:3], 0x20
	s_load_b64 s[16:17], s[0:1], 0x4
	s_mov_b64 s[0:1], src_shared_base
	v_and_b32_e32 v8, 0x3ff, v0
	v_bfe_u32 v2, v0, 10, 10
	v_bfe_u32 v0, v0, 20, 10
	s_waitcnt lgkmcnt(0)
	s_bitcmp1_b32 s13, 0
	s_cselect_b32 s0, -1, 0
	s_delay_alu instid0(SALU_CYCLE_1) | instskip(SKIP_4) | instid1(SALU_CYCLE_1)
	s_and_b32 vcc_lo, s0, exec_lo
	s_cselect_b32 s13, s1, s5
	s_lshr_b32 s14, s16, 16
	v_mov_b32_e32 v6, s13
	s_mul_i32 s14, s14, s17
	v_mul_lo_u32 v1, s14, v8
	s_delay_alu instid0(VALU_DEP_1) | instskip(SKIP_1) | instid1(VALU_DEP_2)
	v_mad_u32_u24 v1, v2, s17, v1
	v_dual_mov_b32 v2, s8 :: v_dual_mov_b32 v3, s9
	v_add_lshl_u32 v4, v1, v0, 3
	v_dual_mov_b32 v0, s4 :: v_dual_mov_b32 v1, s5
	s_delay_alu instid0(VALU_DEP_2)
	v_add_nc_u32_e32 v5, 0x1000, v4
	ds_store_2addr_stride64_b64 v4, v[2:3], v[0:1] offset1:8
	v_dual_mov_b32 v2, s6 :: v_dual_mov_b32 v3, s7
	v_cndmask_b32_e64 v5, s4, v5, s0
	s_xor_b32 s6, s0, -1
	flat_load_b64 v[0:1], v[5:6]
	s_cbranch_vccnz .LBB3_2
; %bb.1:
	v_dual_mov_b32 v2, s4 :: v_dual_mov_b32 v3, s5
	flat_load_b64 v[2:3], v[2:3] offset:8
.LBB3_2:
	s_and_b32 s4, s0, exec_lo
	s_cselect_b32 s1, s1, s9
	v_cndmask_b32_e64 v4, s8, v4, s0
	v_dual_mov_b32 v5, s1 :: v_dual_mov_b32 v6, s10
	v_mov_b32_e32 v7, s11
	s_and_not1_b32 vcc_lo, exec_lo, s6
	flat_load_b64 v[4:5], v[4:5]
	s_cbranch_vccnz .LBB3_4
; %bb.3:
	v_dual_mov_b32 v6, s8 :: v_dual_mov_b32 v7, s9
	flat_load_b64 v[6:7], v[6:7] offset:8
.LBB3_4:
	s_waitcnt vmcnt(1) lgkmcnt(1)
	v_cmp_eq_f64_e32 vcc_lo, 1.0, v[0:1]
	v_cmp_eq_f64_e64 s0, 0, v[2:3]
	s_delay_alu instid0(VALU_DEP_1)
	s_and_b32 s4, vcc_lo, s0
	s_mov_b32 s0, -1
	s_and_saveexec_b32 s1, s4
	s_cbranch_execz .LBB3_6
; %bb.5:
	s_waitcnt vmcnt(0) lgkmcnt(0)
	v_cmp_neq_f64_e32 vcc_lo, 0, v[4:5]
	v_cmp_neq_f64_e64 s0, 0, v[6:7]
	s_delay_alu instid0(VALU_DEP_1) | instskip(NEXT) | instid1(SALU_CYCLE_1)
	s_or_b32 s0, vcc_lo, s0
	s_or_not1_b32 s0, s0, exec_lo
.LBB3_6:
	s_or_b32 exec_lo, exec_lo, s1
	s_and_saveexec_b32 s1, s0
	s_cbranch_execz .LBB3_9
; %bb.7:
	s_load_b32 s0, s[2:3], 0x0
	v_lshl_or_b32 v8, s15, 9, v8
	s_waitcnt lgkmcnt(0)
	s_delay_alu instid0(VALU_DEP_1)
	v_cmp_gt_i32_e32 vcc_lo, s0, v8
	s_and_b32 exec_lo, exec_lo, vcc_lo
	s_cbranch_execz .LBB3_9
; %bb.8:
	s_clause 0x1
	s_load_b128 s[4:7], s[2:3], 0x8
	s_load_b64 s[0:1], s[2:3], 0x18
	v_ashrrev_i32_e32 v9, 31, v8
	s_delay_alu instid0(VALU_DEP_1) | instskip(SKIP_2) | instid1(VALU_DEP_2)
	v_lshlrev_b64 v[10:11], 2, v[8:9]
	v_lshlrev_b64 v[8:9], 4, v[8:9]
	s_waitcnt lgkmcnt(0)
	v_add_co_u32 v10, vcc_lo, s6, v10
	s_delay_alu instid0(VALU_DEP_3) | instskip(NEXT) | instid1(VALU_DEP_3)
	v_add_co_ci_u32_e32 v11, vcc_lo, s7, v11, vcc_lo
	v_add_co_u32 v16, vcc_lo, s4, v8
	s_delay_alu instid0(VALU_DEP_4) | instskip(SKIP_3) | instid1(VALU_DEP_1)
	v_add_co_ci_u32_e32 v17, vcc_lo, s5, v9, vcc_lo
	global_load_b32 v10, v[10:11], off
	s_waitcnt vmcnt(0)
	v_subrev_nc_u32_e32 v10, s12, v10
	v_ashrrev_i32_e32 v11, 31, v10
	s_delay_alu instid0(VALU_DEP_1) | instskip(NEXT) | instid1(VALU_DEP_1)
	v_lshlrev_b64 v[10:11], 4, v[10:11]
	v_add_co_u32 v18, vcc_lo, s0, v10
	s_delay_alu instid0(VALU_DEP_2)
	v_add_co_ci_u32_e32 v19, vcc_lo, s1, v11, vcc_lo
	global_load_b128 v[8:11], v[16:17], off
	global_load_b128 v[12:15], v[18:19], off
	s_waitcnt vmcnt(1)
	v_mul_f64 v[20:21], v[10:11], -v[2:3]
	v_mul_f64 v[22:23], v[0:1], v[10:11]
	v_mul_f64 v[24:25], v[10:11], -v[6:7]
	v_mul_f64 v[10:11], v[4:5], v[10:11]
	s_waitcnt vmcnt(0)
	v_mul_f64 v[26:27], v[14:15], -v[6:7]
	v_mul_f64 v[28:29], v[4:5], v[14:15]
	v_mul_f64 v[30:31], v[14:15], -v[2:3]
	v_mul_f64 v[14:15], v[0:1], v[14:15]
	v_fma_f64 v[20:21], v[0:1], v[8:9], v[20:21]
	v_fma_f64 v[22:23], v[2:3], v[8:9], v[22:23]
	;; [unrolled: 1-line block ×8, first 2 shown]
	s_delay_alu instid0(VALU_DEP_4) | instskip(NEXT) | instid1(VALU_DEP_4)
	v_add_f64 v[0:1], v[20:21], v[4:5]
	v_add_f64 v[2:3], v[22:23], v[6:7]
	s_delay_alu instid0(VALU_DEP_4) | instskip(NEXT) | instid1(VALU_DEP_4)
	v_add_f64 v[4:5], v[10:11], -v[24:25]
	v_add_f64 v[6:7], v[12:13], -v[8:9]
	global_store_b128 v[16:17], v[0:3], off
	global_store_b128 v[18:19], v[4:7], off
.LBB3_9:
	s_nop 0
	s_sendmsg sendmsg(MSG_DEALLOC_VGPRS)
	s_endpgm
	.section	.rodata,"a",@progbits
	.p2align	6, 0x0
	.amdhsa_kernel _ZN9rocsparseL11roti_kernelILj512Ei21rocsparse_complex_numIdEEEvT0_PT1_PKS3_S5_NS_24const_host_device_scalarIS4_EES9_21rocsparse_index_base_b
		.amdhsa_group_segment_fixed_size 8192
		.amdhsa_private_segment_fixed_size 0
		.amdhsa_kernarg_size 72
		.amdhsa_user_sgpr_count 15
		.amdhsa_user_sgpr_dispatch_ptr 1
		.amdhsa_user_sgpr_queue_ptr 0
		.amdhsa_user_sgpr_kernarg_segment_ptr 1
		.amdhsa_user_sgpr_dispatch_id 0
		.amdhsa_user_sgpr_private_segment_size 0
		.amdhsa_wavefront_size32 1
		.amdhsa_uses_dynamic_stack 0
		.amdhsa_enable_private_segment 0
		.amdhsa_system_sgpr_workgroup_id_x 1
		.amdhsa_system_sgpr_workgroup_id_y 0
		.amdhsa_system_sgpr_workgroup_id_z 0
		.amdhsa_system_sgpr_workgroup_info 0
		.amdhsa_system_vgpr_workitem_id 2
		.amdhsa_next_free_vgpr 32
		.amdhsa_next_free_sgpr 18
		.amdhsa_reserve_vcc 1
		.amdhsa_float_round_mode_32 0
		.amdhsa_float_round_mode_16_64 0
		.amdhsa_float_denorm_mode_32 3
		.amdhsa_float_denorm_mode_16_64 3
		.amdhsa_dx10_clamp 1
		.amdhsa_ieee_mode 1
		.amdhsa_fp16_overflow 0
		.amdhsa_workgroup_processor_mode 1
		.amdhsa_memory_ordered 1
		.amdhsa_forward_progress 0
		.amdhsa_shared_vgpr_count 0
		.amdhsa_exception_fp_ieee_invalid_op 0
		.amdhsa_exception_fp_denorm_src 0
		.amdhsa_exception_fp_ieee_div_zero 0
		.amdhsa_exception_fp_ieee_overflow 0
		.amdhsa_exception_fp_ieee_underflow 0
		.amdhsa_exception_fp_ieee_inexact 0
		.amdhsa_exception_int_div_zero 0
	.end_amdhsa_kernel
	.section	.text._ZN9rocsparseL11roti_kernelILj512Ei21rocsparse_complex_numIdEEEvT0_PT1_PKS3_S5_NS_24const_host_device_scalarIS4_EES9_21rocsparse_index_base_b,"axG",@progbits,_ZN9rocsparseL11roti_kernelILj512Ei21rocsparse_complex_numIdEEEvT0_PT1_PKS3_S5_NS_24const_host_device_scalarIS4_EES9_21rocsparse_index_base_b,comdat
.Lfunc_end3:
	.size	_ZN9rocsparseL11roti_kernelILj512Ei21rocsparse_complex_numIdEEEvT0_PT1_PKS3_S5_NS_24const_host_device_scalarIS4_EES9_21rocsparse_index_base_b, .Lfunc_end3-_ZN9rocsparseL11roti_kernelILj512Ei21rocsparse_complex_numIdEEEvT0_PT1_PKS3_S5_NS_24const_host_device_scalarIS4_EES9_21rocsparse_index_base_b
                                        ; -- End function
	.section	.AMDGPU.csdata,"",@progbits
; Kernel info:
; codeLenInByte = 724
; NumSgprs: 20
; NumVgprs: 32
; ScratchSize: 0
; MemoryBound: 0
; FloatMode: 240
; IeeeMode: 1
; LDSByteSize: 8192 bytes/workgroup (compile time only)
; SGPRBlocks: 2
; VGPRBlocks: 3
; NumSGPRsForWavesPerEU: 20
; NumVGPRsForWavesPerEU: 32
; Occupancy: 16
; WaveLimiterHint : 1
; COMPUTE_PGM_RSRC2:SCRATCH_EN: 0
; COMPUTE_PGM_RSRC2:USER_SGPR: 15
; COMPUTE_PGM_RSRC2:TRAP_HANDLER: 0
; COMPUTE_PGM_RSRC2:TGID_X_EN: 1
; COMPUTE_PGM_RSRC2:TGID_Y_EN: 0
; COMPUTE_PGM_RSRC2:TGID_Z_EN: 0
; COMPUTE_PGM_RSRC2:TIDIG_COMP_CNT: 2
	.section	.text._ZN9rocsparseL11roti_kernelILj512ElfEEvT0_PT1_PKS1_S3_NS_24const_host_device_scalarIS2_EES7_21rocsparse_index_base_b,"axG",@progbits,_ZN9rocsparseL11roti_kernelILj512ElfEEvT0_PT1_PKS1_S3_NS_24const_host_device_scalarIS2_EES7_21rocsparse_index_base_b,comdat
	.globl	_ZN9rocsparseL11roti_kernelILj512ElfEEvT0_PT1_PKS1_S3_NS_24const_host_device_scalarIS2_EES7_21rocsparse_index_base_b ; -- Begin function _ZN9rocsparseL11roti_kernelILj512ElfEEvT0_PT1_PKS1_S3_NS_24const_host_device_scalarIS2_EES7_21rocsparse_index_base_b
	.p2align	8
	.type	_ZN9rocsparseL11roti_kernelILj512ElfEEvT0_PT1_PKS1_S3_NS_24const_host_device_scalarIS2_EES7_21rocsparse_index_base_b,@function
_ZN9rocsparseL11roti_kernelILj512ElfEEvT0_PT1_PKS1_S3_NS_24const_host_device_scalarIS2_EES7_21rocsparse_index_base_b: ; @_ZN9rocsparseL11roti_kernelILj512ElfEEvT0_PT1_PKS1_S3_NS_24const_host_device_scalarIS2_EES7_21rocsparse_index_base_b
; %bb.0:
	s_clause 0x1
	s_load_b64 s[2:3], s[0:1], 0x30
	s_load_b128 s[4:7], s[0:1], 0x20
	s_waitcnt lgkmcnt(0)
	s_bitcmp1_b32 s3, 0
	s_cselect_b32 s3, -1, 0
	s_delay_alu instid0(SALU_CYCLE_1)
	s_and_b32 vcc_lo, exec_lo, s3
	s_xor_b32 s3, s3, -1
	s_cbranch_vccnz .LBB4_2
; %bb.1:
	s_load_b32 s4, s[4:5], 0x0
.LBB4_2:
	s_and_not1_b32 vcc_lo, exec_lo, s3
	s_cbranch_vccnz .LBB4_4
; %bb.3:
	s_load_b32 s6, s[6:7], 0x0
.LBB4_4:
	s_waitcnt lgkmcnt(0)
	v_cmp_eq_f32_e64 s3, s4, 1.0
	v_cmp_eq_f32_e64 s5, s6, 0
	s_delay_alu instid0(VALU_DEP_1) | instskip(NEXT) | instid1(SALU_CYCLE_1)
	s_and_b32 s3, s3, s5
	s_and_b32 vcc_lo, exec_lo, s3
	s_cbranch_vccnz .LBB4_7
; %bb.5:
	s_load_b64 s[8:9], s[0:1], 0x0
	v_lshl_or_b32 v0, s15, 9, v0
	v_mov_b32_e32 v1, 0
	s_mov_b32 s3, exec_lo
	s_waitcnt lgkmcnt(0)
	s_delay_alu instid0(VALU_DEP_1)
	v_cmpx_gt_i64_e64 s[8:9], v[0:1]
	s_cbranch_execz .LBB4_7
; %bb.6:
	s_load_b128 s[8:11], s[0:1], 0x8
	v_lshlrev_b64 v[2:3], 3, v[0:1]
	s_load_b64 s[0:1], s[0:1], 0x18
	v_lshlrev_b64 v[0:1], 2, v[0:1]
	s_waitcnt lgkmcnt(0)
	s_delay_alu instid0(VALU_DEP_2) | instskip(NEXT) | instid1(VALU_DEP_3)
	v_add_co_u32 v2, vcc_lo, s10, v2
	v_add_co_ci_u32_e32 v3, vcc_lo, s11, v3, vcc_lo
	global_load_b64 v[2:3], v[2:3], off
	s_waitcnt vmcnt(0)
	v_sub_co_u32 v2, vcc_lo, v2, s2
	v_subrev_co_ci_u32_e32 v3, vcc_lo, 0, v3, vcc_lo
	s_delay_alu instid0(VALU_DEP_1) | instskip(NEXT) | instid1(VALU_DEP_1)
	v_lshlrev_b64 v[2:3], 2, v[2:3]
	v_add_co_u32 v2, vcc_lo, s0, v2
	s_delay_alu instid0(VALU_DEP_2)
	v_add_co_ci_u32_e32 v3, vcc_lo, s1, v3, vcc_lo
	v_add_co_u32 v0, vcc_lo, s8, v0
	v_add_co_ci_u32_e32 v1, vcc_lo, s9, v1, vcc_lo
	global_load_b32 v4, v[2:3], off
	global_load_b32 v5, v[0:1], off
	s_waitcnt vmcnt(0)
	v_dual_mul_f32 v6, s6, v4 :: v_dual_mul_f32 v7, s6, v5
	s_delay_alu instid0(VALU_DEP_1) | instskip(NEXT) | instid1(VALU_DEP_2)
	v_fmac_f32_e32 v6, s4, v5
	v_fma_f32 v4, s4, v4, -v7
	global_store_b32 v[0:1], v6, off
	global_store_b32 v[2:3], v4, off
.LBB4_7:
	s_nop 0
	s_sendmsg sendmsg(MSG_DEALLOC_VGPRS)
	s_endpgm
	.section	.rodata,"a",@progbits
	.p2align	6, 0x0
	.amdhsa_kernel _ZN9rocsparseL11roti_kernelILj512ElfEEvT0_PT1_PKS1_S3_NS_24const_host_device_scalarIS2_EES7_21rocsparse_index_base_b
		.amdhsa_group_segment_fixed_size 0
		.amdhsa_private_segment_fixed_size 0
		.amdhsa_kernarg_size 56
		.amdhsa_user_sgpr_count 15
		.amdhsa_user_sgpr_dispatch_ptr 0
		.amdhsa_user_sgpr_queue_ptr 0
		.amdhsa_user_sgpr_kernarg_segment_ptr 1
		.amdhsa_user_sgpr_dispatch_id 0
		.amdhsa_user_sgpr_private_segment_size 0
		.amdhsa_wavefront_size32 1
		.amdhsa_uses_dynamic_stack 0
		.amdhsa_enable_private_segment 0
		.amdhsa_system_sgpr_workgroup_id_x 1
		.amdhsa_system_sgpr_workgroup_id_y 0
		.amdhsa_system_sgpr_workgroup_id_z 0
		.amdhsa_system_sgpr_workgroup_info 0
		.amdhsa_system_vgpr_workitem_id 0
		.amdhsa_next_free_vgpr 8
		.amdhsa_next_free_sgpr 16
		.amdhsa_reserve_vcc 1
		.amdhsa_float_round_mode_32 0
		.amdhsa_float_round_mode_16_64 0
		.amdhsa_float_denorm_mode_32 3
		.amdhsa_float_denorm_mode_16_64 3
		.amdhsa_dx10_clamp 1
		.amdhsa_ieee_mode 1
		.amdhsa_fp16_overflow 0
		.amdhsa_workgroup_processor_mode 1
		.amdhsa_memory_ordered 1
		.amdhsa_forward_progress 0
		.amdhsa_shared_vgpr_count 0
		.amdhsa_exception_fp_ieee_invalid_op 0
		.amdhsa_exception_fp_denorm_src 0
		.amdhsa_exception_fp_ieee_div_zero 0
		.amdhsa_exception_fp_ieee_overflow 0
		.amdhsa_exception_fp_ieee_underflow 0
		.amdhsa_exception_fp_ieee_inexact 0
		.amdhsa_exception_int_div_zero 0
	.end_amdhsa_kernel
	.section	.text._ZN9rocsparseL11roti_kernelILj512ElfEEvT0_PT1_PKS1_S3_NS_24const_host_device_scalarIS2_EES7_21rocsparse_index_base_b,"axG",@progbits,_ZN9rocsparseL11roti_kernelILj512ElfEEvT0_PT1_PKS1_S3_NS_24const_host_device_scalarIS2_EES7_21rocsparse_index_base_b,comdat
.Lfunc_end4:
	.size	_ZN9rocsparseL11roti_kernelILj512ElfEEvT0_PT1_PKS1_S3_NS_24const_host_device_scalarIS2_EES7_21rocsparse_index_base_b, .Lfunc_end4-_ZN9rocsparseL11roti_kernelILj512ElfEEvT0_PT1_PKS1_S3_NS_24const_host_device_scalarIS2_EES7_21rocsparse_index_base_b
                                        ; -- End function
	.section	.AMDGPU.csdata,"",@progbits
; Kernel info:
; codeLenInByte = 340
; NumSgprs: 18
; NumVgprs: 8
; ScratchSize: 0
; MemoryBound: 0
; FloatMode: 240
; IeeeMode: 1
; LDSByteSize: 0 bytes/workgroup (compile time only)
; SGPRBlocks: 2
; VGPRBlocks: 0
; NumSGPRsForWavesPerEU: 18
; NumVGPRsForWavesPerEU: 8
; Occupancy: 16
; WaveLimiterHint : 1
; COMPUTE_PGM_RSRC2:SCRATCH_EN: 0
; COMPUTE_PGM_RSRC2:USER_SGPR: 15
; COMPUTE_PGM_RSRC2:TRAP_HANDLER: 0
; COMPUTE_PGM_RSRC2:TGID_X_EN: 1
; COMPUTE_PGM_RSRC2:TGID_Y_EN: 0
; COMPUTE_PGM_RSRC2:TGID_Z_EN: 0
; COMPUTE_PGM_RSRC2:TIDIG_COMP_CNT: 0
	.section	.text._ZN9rocsparseL11roti_kernelILj512El21rocsparse_complex_numIfEEEvT0_PT1_PKS3_S5_NS_24const_host_device_scalarIS4_EES9_21rocsparse_index_base_b,"axG",@progbits,_ZN9rocsparseL11roti_kernelILj512El21rocsparse_complex_numIfEEEvT0_PT1_PKS3_S5_NS_24const_host_device_scalarIS4_EES9_21rocsparse_index_base_b,comdat
	.globl	_ZN9rocsparseL11roti_kernelILj512El21rocsparse_complex_numIfEEEvT0_PT1_PKS3_S5_NS_24const_host_device_scalarIS4_EES9_21rocsparse_index_base_b ; -- Begin function _ZN9rocsparseL11roti_kernelILj512El21rocsparse_complex_numIfEEEvT0_PT1_PKS3_S5_NS_24const_host_device_scalarIS4_EES9_21rocsparse_index_base_b
	.p2align	8
	.type	_ZN9rocsparseL11roti_kernelILj512El21rocsparse_complex_numIfEEEvT0_PT1_PKS3_S5_NS_24const_host_device_scalarIS4_EES9_21rocsparse_index_base_b,@function
_ZN9rocsparseL11roti_kernelILj512El21rocsparse_complex_numIfEEEvT0_PT1_PKS3_S5_NS_24const_host_device_scalarIS4_EES9_21rocsparse_index_base_b: ; @_ZN9rocsparseL11roti_kernelILj512El21rocsparse_complex_numIfEEEvT0_PT1_PKS3_S5_NS_24const_host_device_scalarIS4_EES9_21rocsparse_index_base_b
; %bb.0:
	s_clause 0x2
	s_load_b64 s[8:9], s[0:1], 0x30
	s_load_b64 s[2:3], s[0:1], 0x20
	s_load_b128 s[4:7], s[0:1], 0x20
	s_waitcnt lgkmcnt(0)
	s_bitcmp1_b32 s9, 0
	v_mov_b32_e32 v2, s2
	s_cselect_b32 s9, -1, 0
	s_delay_alu instid0(SALU_CYCLE_1)
	s_and_b32 vcc_lo, exec_lo, s9
	s_xor_b32 s2, s9, -1
	s_cbranch_vccz .LBB5_11
; %bb.1:
	v_cndmask_b32_e64 v1, 0, 1, s2
	v_mov_b32_e32 v3, s3
	s_and_not1_b32 vcc_lo, exec_lo, s2
	s_cbranch_vccz .LBB5_12
.LBB5_2:
	s_delay_alu instid0(VALU_DEP_2)
	v_cmp_ne_u32_e32 vcc_lo, 1, v1
	v_mov_b32_e32 v4, s6
	s_cbranch_vccz .LBB5_13
.LBB5_3:
	v_cmp_ne_u32_e32 vcc_lo, 1, v1
	v_mov_b32_e32 v5, s7
	s_cbranch_vccnz .LBB5_5
.LBB5_4:
	v_dual_mov_b32 v5, s6 :: v_dual_mov_b32 v6, s7
	flat_load_b32 v5, v[5:6] offset:4
.LBB5_5:
	s_waitcnt vmcnt(0) lgkmcnt(0)
	v_cmp_eq_f32_e32 vcc_lo, 1.0, v2
	v_cmp_eq_f32_e64 s2, 0, v3
	s_delay_alu instid0(VALU_DEP_1)
	s_and_b32 s4, vcc_lo, s2
	s_mov_b32 s2, -1
	s_and_saveexec_b32 s3, s4
; %bb.6:
	v_cmp_neq_f32_e32 vcc_lo, 0, v4
	v_cmp_neq_f32_e64 s2, 0, v5
	s_delay_alu instid0(VALU_DEP_1) | instskip(NEXT) | instid1(SALU_CYCLE_1)
	s_or_b32 s2, vcc_lo, s2
	s_or_not1_b32 s2, s2, exec_lo
; %bb.7:
	s_or_b32 exec_lo, exec_lo, s3
	s_and_saveexec_b32 s3, s2
	s_cbranch_execz .LBB5_10
; %bb.8:
	s_load_b64 s[2:3], s[0:1], 0x0
	v_lshl_or_b32 v0, s15, 9, v0
	v_mov_b32_e32 v1, 0
	s_waitcnt lgkmcnt(0)
	s_delay_alu instid0(VALU_DEP_1)
	v_cmp_gt_i64_e32 vcc_lo, s[2:3], v[0:1]
	s_and_b32 exec_lo, exec_lo, vcc_lo
	s_cbranch_execz .LBB5_10
; %bb.9:
	s_load_b128 s[4:7], s[0:1], 0x8
	v_lshlrev_b64 v[0:1], 3, v[0:1]
	s_load_b64 s[0:1], s[0:1], 0x18
	s_waitcnt lgkmcnt(0)
	s_delay_alu instid0(VALU_DEP_1) | instskip(NEXT) | instid1(VALU_DEP_2)
	v_add_co_u32 v6, vcc_lo, s6, v0
	v_add_co_ci_u32_e32 v7, vcc_lo, s7, v1, vcc_lo
	global_load_b64 v[6:7], v[6:7], off
	s_waitcnt vmcnt(0)
	v_sub_co_u32 v6, vcc_lo, v6, s8
	v_subrev_co_ci_u32_e32 v7, vcc_lo, 0, v7, vcc_lo
	v_add_co_u32 v0, vcc_lo, s4, v0
	v_add_co_ci_u32_e32 v1, vcc_lo, s5, v1, vcc_lo
	s_delay_alu instid0(VALU_DEP_3)
	v_lshlrev_b64 v[6:7], 3, v[6:7]
	global_load_b64 v[8:9], v[0:1], off
	v_add_co_u32 v6, vcc_lo, s0, v6
	v_add_co_ci_u32_e32 v7, vcc_lo, s1, v7, vcc_lo
	global_load_b64 v[10:11], v[6:7], off
	s_waitcnt vmcnt(1)
	v_mul_f32_e64 v12, v9, -v3
	v_mul_f32_e64 v14, v9, -v5
	s_delay_alu instid0(VALU_DEP_1)
	v_dual_mul_f32 v13, v2, v9 :: v_dual_fmac_f32 v14, v4, v8
	s_waitcnt vmcnt(0)
	v_mul_f32_e64 v15, v11, -v5
	v_mul_f32_e32 v16, v11, v4
	v_fmac_f32_e32 v12, v2, v8
	v_mul_f32_e64 v17, v11, -v3
	v_mul_f32_e32 v11, v2, v11
	v_fmac_f32_e32 v15, v4, v10
	v_mul_f32_e32 v9, v9, v4
	v_dual_fmac_f32 v13, v3, v8 :: v_dual_fmac_f32 v16, v5, v10
	v_fmac_f32_e32 v17, v2, v10
	s_delay_alu instid0(VALU_DEP_4) | instskip(NEXT) | instid1(VALU_DEP_4)
	v_dual_fmac_f32 v11, v3, v10 :: v_dual_add_f32 v2, v12, v15
	v_fmac_f32_e32 v9, v5, v8
	s_delay_alu instid0(VALU_DEP_4) | instskip(NEXT) | instid1(VALU_DEP_2)
	v_add_f32_e32 v3, v13, v16
	v_dual_sub_f32 v4, v17, v14 :: v_dual_sub_f32 v5, v11, v9
	global_store_b64 v[0:1], v[2:3], off
	global_store_b64 v[6:7], v[4:5], off
.LBB5_10:
	s_nop 0
	s_sendmsg sendmsg(MSG_DEALLOC_VGPRS)
	s_endpgm
.LBB5_11:
	v_dual_mov_b32 v1, s4 :: v_dual_mov_b32 v2, s5
	flat_load_b32 v2, v[1:2]
	v_cndmask_b32_e64 v1, 0, 1, s2
	v_mov_b32_e32 v3, s3
	s_and_not1_b32 vcc_lo, exec_lo, s2
	s_cbranch_vccnz .LBB5_2
.LBB5_12:
	v_dual_mov_b32 v3, s4 :: v_dual_mov_b32 v4, s5
	flat_load_b32 v3, v[3:4] offset:4
	v_cmp_ne_u32_e32 vcc_lo, 1, v1
	v_mov_b32_e32 v4, s6
	s_cbranch_vccnz .LBB5_3
.LBB5_13:
	v_dual_mov_b32 v4, s6 :: v_dual_mov_b32 v5, s7
	flat_load_b32 v4, v[4:5]
	v_cmp_ne_u32_e32 vcc_lo, 1, v1
	v_mov_b32_e32 v5, s7
	s_cbranch_vccz .LBB5_4
	s_branch .LBB5_5
	.section	.rodata,"a",@progbits
	.p2align	6, 0x0
	.amdhsa_kernel _ZN9rocsparseL11roti_kernelILj512El21rocsparse_complex_numIfEEEvT0_PT1_PKS3_S5_NS_24const_host_device_scalarIS4_EES9_21rocsparse_index_base_b
		.amdhsa_group_segment_fixed_size 0
		.amdhsa_private_segment_fixed_size 0
		.amdhsa_kernarg_size 56
		.amdhsa_user_sgpr_count 15
		.amdhsa_user_sgpr_dispatch_ptr 0
		.amdhsa_user_sgpr_queue_ptr 0
		.amdhsa_user_sgpr_kernarg_segment_ptr 1
		.amdhsa_user_sgpr_dispatch_id 0
		.amdhsa_user_sgpr_private_segment_size 0
		.amdhsa_wavefront_size32 1
		.amdhsa_uses_dynamic_stack 0
		.amdhsa_enable_private_segment 0
		.amdhsa_system_sgpr_workgroup_id_x 1
		.amdhsa_system_sgpr_workgroup_id_y 0
		.amdhsa_system_sgpr_workgroup_id_z 0
		.amdhsa_system_sgpr_workgroup_info 0
		.amdhsa_system_vgpr_workitem_id 0
		.amdhsa_next_free_vgpr 18
		.amdhsa_next_free_sgpr 16
		.amdhsa_reserve_vcc 1
		.amdhsa_float_round_mode_32 0
		.amdhsa_float_round_mode_16_64 0
		.amdhsa_float_denorm_mode_32 3
		.amdhsa_float_denorm_mode_16_64 3
		.amdhsa_dx10_clamp 1
		.amdhsa_ieee_mode 1
		.amdhsa_fp16_overflow 0
		.amdhsa_workgroup_processor_mode 1
		.amdhsa_memory_ordered 1
		.amdhsa_forward_progress 0
		.amdhsa_shared_vgpr_count 0
		.amdhsa_exception_fp_ieee_invalid_op 0
		.amdhsa_exception_fp_denorm_src 0
		.amdhsa_exception_fp_ieee_div_zero 0
		.amdhsa_exception_fp_ieee_overflow 0
		.amdhsa_exception_fp_ieee_underflow 0
		.amdhsa_exception_fp_ieee_inexact 0
		.amdhsa_exception_int_div_zero 0
	.end_amdhsa_kernel
	.section	.text._ZN9rocsparseL11roti_kernelILj512El21rocsparse_complex_numIfEEEvT0_PT1_PKS3_S5_NS_24const_host_device_scalarIS4_EES9_21rocsparse_index_base_b,"axG",@progbits,_ZN9rocsparseL11roti_kernelILj512El21rocsparse_complex_numIfEEEvT0_PT1_PKS3_S5_NS_24const_host_device_scalarIS4_EES9_21rocsparse_index_base_b,comdat
.Lfunc_end5:
	.size	_ZN9rocsparseL11roti_kernelILj512El21rocsparse_complex_numIfEEEvT0_PT1_PKS3_S5_NS_24const_host_device_scalarIS4_EES9_21rocsparse_index_base_b, .Lfunc_end5-_ZN9rocsparseL11roti_kernelILj512El21rocsparse_complex_numIfEEEvT0_PT1_PKS3_S5_NS_24const_host_device_scalarIS4_EES9_21rocsparse_index_base_b
                                        ; -- End function
	.section	.AMDGPU.csdata,"",@progbits
; Kernel info:
; codeLenInByte = 592
; NumSgprs: 18
; NumVgprs: 18
; ScratchSize: 0
; MemoryBound: 0
; FloatMode: 240
; IeeeMode: 1
; LDSByteSize: 0 bytes/workgroup (compile time only)
; SGPRBlocks: 2
; VGPRBlocks: 2
; NumSGPRsForWavesPerEU: 18
; NumVGPRsForWavesPerEU: 18
; Occupancy: 16
; WaveLimiterHint : 1
; COMPUTE_PGM_RSRC2:SCRATCH_EN: 0
; COMPUTE_PGM_RSRC2:USER_SGPR: 15
; COMPUTE_PGM_RSRC2:TRAP_HANDLER: 0
; COMPUTE_PGM_RSRC2:TGID_X_EN: 1
; COMPUTE_PGM_RSRC2:TGID_Y_EN: 0
; COMPUTE_PGM_RSRC2:TGID_Z_EN: 0
; COMPUTE_PGM_RSRC2:TIDIG_COMP_CNT: 0
	.section	.text._ZN9rocsparseL11roti_kernelILj512EldEEvT0_PT1_PKS1_S3_NS_24const_host_device_scalarIS2_EES7_21rocsparse_index_base_b,"axG",@progbits,_ZN9rocsparseL11roti_kernelILj512EldEEvT0_PT1_PKS1_S3_NS_24const_host_device_scalarIS2_EES7_21rocsparse_index_base_b,comdat
	.globl	_ZN9rocsparseL11roti_kernelILj512EldEEvT0_PT1_PKS1_S3_NS_24const_host_device_scalarIS2_EES7_21rocsparse_index_base_b ; -- Begin function _ZN9rocsparseL11roti_kernelILj512EldEEvT0_PT1_PKS1_S3_NS_24const_host_device_scalarIS2_EES7_21rocsparse_index_base_b
	.p2align	8
	.type	_ZN9rocsparseL11roti_kernelILj512EldEEvT0_PT1_PKS1_S3_NS_24const_host_device_scalarIS2_EES7_21rocsparse_index_base_b,@function
_ZN9rocsparseL11roti_kernelILj512EldEEvT0_PT1_PKS1_S3_NS_24const_host_device_scalarIS2_EES7_21rocsparse_index_base_b: ; @_ZN9rocsparseL11roti_kernelILj512EldEEvT0_PT1_PKS1_S3_NS_24const_host_device_scalarIS2_EES7_21rocsparse_index_base_b
; %bb.0:
	s_clause 0x1
	s_load_b64 s[8:9], s[0:1], 0x30
	s_load_b128 s[4:7], s[0:1], 0x20
	s_waitcnt lgkmcnt(0)
	s_bitcmp1_b32 s9, 0
	v_dual_mov_b32 v1, s4 :: v_dual_mov_b32 v2, s5
	s_cselect_b32 s2, -1, 0
	s_delay_alu instid0(SALU_CYCLE_1)
	s_and_b32 vcc_lo, exec_lo, s2
	s_xor_b32 s2, s2, -1
	s_cbranch_vccnz .LBB6_2
; %bb.1:
	v_dual_mov_b32 v1, s4 :: v_dual_mov_b32 v2, s5
	flat_load_b64 v[1:2], v[1:2]
.LBB6_2:
	v_dual_mov_b32 v3, s6 :: v_dual_mov_b32 v4, s7
	s_and_not1_b32 vcc_lo, exec_lo, s2
	s_cbranch_vccnz .LBB6_4
; %bb.3:
	v_dual_mov_b32 v3, s6 :: v_dual_mov_b32 v4, s7
	flat_load_b64 v[3:4], v[3:4]
.LBB6_4:
	s_waitcnt vmcnt(0) lgkmcnt(0)
	v_cmp_neq_f64_e32 vcc_lo, 1.0, v[1:2]
	v_cmp_neq_f64_e64 s2, 0, v[3:4]
	s_delay_alu instid0(VALU_DEP_1) | instskip(NEXT) | instid1(SALU_CYCLE_1)
	s_or_b32 s2, vcc_lo, s2
	s_and_saveexec_b32 s3, s2
	s_cbranch_execz .LBB6_7
; %bb.5:
	s_load_b64 s[2:3], s[0:1], 0x0
	v_lshl_or_b32 v5, s15, 9, v0
	v_mov_b32_e32 v6, 0
	s_waitcnt lgkmcnt(0)
	s_delay_alu instid0(VALU_DEP_1)
	v_cmp_gt_i64_e32 vcc_lo, s[2:3], v[5:6]
	s_and_b32 exec_lo, exec_lo, vcc_lo
	s_cbranch_execz .LBB6_7
; %bb.6:
	s_load_b128 s[4:7], s[0:1], 0x8
	v_lshlrev_b64 v[5:6], 3, v[5:6]
	s_load_b64 s[0:1], s[0:1], 0x18
	s_waitcnt lgkmcnt(0)
	s_delay_alu instid0(VALU_DEP_1) | instskip(NEXT) | instid1(VALU_DEP_2)
	v_add_co_u32 v7, vcc_lo, s6, v5
	v_add_co_ci_u32_e32 v8, vcc_lo, s7, v6, vcc_lo
	global_load_b64 v[7:8], v[7:8], off
	s_waitcnt vmcnt(0)
	v_sub_co_u32 v7, vcc_lo, v7, s8
	v_subrev_co_ci_u32_e32 v8, vcc_lo, 0, v8, vcc_lo
	s_delay_alu instid0(VALU_DEP_1) | instskip(NEXT) | instid1(VALU_DEP_1)
	v_lshlrev_b64 v[7:8], 3, v[7:8]
	v_add_co_u32 v7, vcc_lo, s0, v7
	s_delay_alu instid0(VALU_DEP_2)
	v_add_co_ci_u32_e32 v8, vcc_lo, s1, v8, vcc_lo
	v_add_co_u32 v5, vcc_lo, s4, v5
	v_add_co_ci_u32_e32 v6, vcc_lo, s5, v6, vcc_lo
	global_load_b64 v[9:10], v[7:8], off
	global_load_b64 v[11:12], v[5:6], off
	s_waitcnt vmcnt(1)
	v_mul_f64 v[13:14], v[3:4], v[9:10]
	s_waitcnt vmcnt(0)
	v_mul_f64 v[3:4], v[3:4], v[11:12]
	s_delay_alu instid0(VALU_DEP_2) | instskip(NEXT) | instid1(VALU_DEP_2)
	v_fma_f64 v[11:12], v[1:2], v[11:12], v[13:14]
	v_fma_f64 v[0:1], v[1:2], v[9:10], -v[3:4]
	global_store_b64 v[5:6], v[11:12], off
	global_store_b64 v[7:8], v[0:1], off
.LBB6_7:
	s_nop 0
	s_sendmsg sendmsg(MSG_DEALLOC_VGPRS)
	s_endpgm
	.section	.rodata,"a",@progbits
	.p2align	6, 0x0
	.amdhsa_kernel _ZN9rocsparseL11roti_kernelILj512EldEEvT0_PT1_PKS1_S3_NS_24const_host_device_scalarIS2_EES7_21rocsparse_index_base_b
		.amdhsa_group_segment_fixed_size 0
		.amdhsa_private_segment_fixed_size 0
		.amdhsa_kernarg_size 56
		.amdhsa_user_sgpr_count 15
		.amdhsa_user_sgpr_dispatch_ptr 0
		.amdhsa_user_sgpr_queue_ptr 0
		.amdhsa_user_sgpr_kernarg_segment_ptr 1
		.amdhsa_user_sgpr_dispatch_id 0
		.amdhsa_user_sgpr_private_segment_size 0
		.amdhsa_wavefront_size32 1
		.amdhsa_uses_dynamic_stack 0
		.amdhsa_enable_private_segment 0
		.amdhsa_system_sgpr_workgroup_id_x 1
		.amdhsa_system_sgpr_workgroup_id_y 0
		.amdhsa_system_sgpr_workgroup_id_z 0
		.amdhsa_system_sgpr_workgroup_info 0
		.amdhsa_system_vgpr_workitem_id 0
		.amdhsa_next_free_vgpr 15
		.amdhsa_next_free_sgpr 16
		.amdhsa_reserve_vcc 1
		.amdhsa_float_round_mode_32 0
		.amdhsa_float_round_mode_16_64 0
		.amdhsa_float_denorm_mode_32 3
		.amdhsa_float_denorm_mode_16_64 3
		.amdhsa_dx10_clamp 1
		.amdhsa_ieee_mode 1
		.amdhsa_fp16_overflow 0
		.amdhsa_workgroup_processor_mode 1
		.amdhsa_memory_ordered 1
		.amdhsa_forward_progress 0
		.amdhsa_shared_vgpr_count 0
		.amdhsa_exception_fp_ieee_invalid_op 0
		.amdhsa_exception_fp_denorm_src 0
		.amdhsa_exception_fp_ieee_div_zero 0
		.amdhsa_exception_fp_ieee_overflow 0
		.amdhsa_exception_fp_ieee_underflow 0
		.amdhsa_exception_fp_ieee_inexact 0
		.amdhsa_exception_int_div_zero 0
	.end_amdhsa_kernel
	.section	.text._ZN9rocsparseL11roti_kernelILj512EldEEvT0_PT1_PKS1_S3_NS_24const_host_device_scalarIS2_EES7_21rocsparse_index_base_b,"axG",@progbits,_ZN9rocsparseL11roti_kernelILj512EldEEvT0_PT1_PKS1_S3_NS_24const_host_device_scalarIS2_EES7_21rocsparse_index_base_b,comdat
.Lfunc_end6:
	.size	_ZN9rocsparseL11roti_kernelILj512EldEEvT0_PT1_PKS1_S3_NS_24const_host_device_scalarIS2_EES7_21rocsparse_index_base_b, .Lfunc_end6-_ZN9rocsparseL11roti_kernelILj512EldEEvT0_PT1_PKS1_S3_NS_24const_host_device_scalarIS2_EES7_21rocsparse_index_base_b
                                        ; -- End function
	.section	.AMDGPU.csdata,"",@progbits
; Kernel info:
; codeLenInByte = 372
; NumSgprs: 18
; NumVgprs: 15
; ScratchSize: 0
; MemoryBound: 0
; FloatMode: 240
; IeeeMode: 1
; LDSByteSize: 0 bytes/workgroup (compile time only)
; SGPRBlocks: 2
; VGPRBlocks: 1
; NumSGPRsForWavesPerEU: 18
; NumVGPRsForWavesPerEU: 15
; Occupancy: 16
; WaveLimiterHint : 1
; COMPUTE_PGM_RSRC2:SCRATCH_EN: 0
; COMPUTE_PGM_RSRC2:USER_SGPR: 15
; COMPUTE_PGM_RSRC2:TRAP_HANDLER: 0
; COMPUTE_PGM_RSRC2:TGID_X_EN: 1
; COMPUTE_PGM_RSRC2:TGID_Y_EN: 0
; COMPUTE_PGM_RSRC2:TGID_Z_EN: 0
; COMPUTE_PGM_RSRC2:TIDIG_COMP_CNT: 0
	.section	.text._ZN9rocsparseL11roti_kernelILj512El21rocsparse_complex_numIdEEEvT0_PT1_PKS3_S5_NS_24const_host_device_scalarIS4_EES9_21rocsparse_index_base_b,"axG",@progbits,_ZN9rocsparseL11roti_kernelILj512El21rocsparse_complex_numIdEEEvT0_PT1_PKS3_S5_NS_24const_host_device_scalarIS4_EES9_21rocsparse_index_base_b,comdat
	.globl	_ZN9rocsparseL11roti_kernelILj512El21rocsparse_complex_numIdEEEvT0_PT1_PKS3_S5_NS_24const_host_device_scalarIS4_EES9_21rocsparse_index_base_b ; -- Begin function _ZN9rocsparseL11roti_kernelILj512El21rocsparse_complex_numIdEEEvT0_PT1_PKS3_S5_NS_24const_host_device_scalarIS4_EES9_21rocsparse_index_base_b
	.p2align	8
	.type	_ZN9rocsparseL11roti_kernelILj512El21rocsparse_complex_numIdEEEvT0_PT1_PKS3_S5_NS_24const_host_device_scalarIS4_EES9_21rocsparse_index_base_b,@function
_ZN9rocsparseL11roti_kernelILj512El21rocsparse_complex_numIdEEEvT0_PT1_PKS3_S5_NS_24const_host_device_scalarIS4_EES9_21rocsparse_index_base_b: ; @_ZN9rocsparseL11roti_kernelILj512El21rocsparse_complex_numIdEEEvT0_PT1_PKS3_S5_NS_24const_host_device_scalarIS4_EES9_21rocsparse_index_base_b
; %bb.0:
	s_clause 0x1
	s_load_b64 s[12:13], s[2:3], 0x40
	s_load_b256 s[4:11], s[2:3], 0x20
	s_load_b64 s[16:17], s[0:1], 0x4
	s_mov_b64 s[0:1], src_shared_base
	v_and_b32_e32 v8, 0x3ff, v0
	v_bfe_u32 v2, v0, 10, 10
	v_bfe_u32 v0, v0, 20, 10
	s_waitcnt lgkmcnt(0)
	s_bitcmp1_b32 s13, 0
	s_cselect_b32 s0, -1, 0
	s_delay_alu instid0(SALU_CYCLE_1) | instskip(SKIP_4) | instid1(SALU_CYCLE_1)
	s_and_b32 vcc_lo, s0, exec_lo
	s_cselect_b32 s13, s1, s5
	s_lshr_b32 s14, s16, 16
	v_mov_b32_e32 v6, s13
	s_mul_i32 s14, s14, s17
	v_mul_lo_u32 v1, s14, v8
	s_delay_alu instid0(VALU_DEP_1) | instskip(SKIP_1) | instid1(VALU_DEP_2)
	v_mad_u32_u24 v1, v2, s17, v1
	v_dual_mov_b32 v2, s8 :: v_dual_mov_b32 v3, s9
	v_add_lshl_u32 v4, v1, v0, 3
	v_dual_mov_b32 v0, s4 :: v_dual_mov_b32 v1, s5
	s_delay_alu instid0(VALU_DEP_2)
	v_add_nc_u32_e32 v5, 0x1000, v4
	ds_store_2addr_stride64_b64 v4, v[2:3], v[0:1] offset1:8
	v_dual_mov_b32 v2, s6 :: v_dual_mov_b32 v3, s7
	v_cndmask_b32_e64 v5, s4, v5, s0
	s_xor_b32 s6, s0, -1
	flat_load_b64 v[0:1], v[5:6]
	s_cbranch_vccnz .LBB7_2
; %bb.1:
	v_dual_mov_b32 v2, s4 :: v_dual_mov_b32 v3, s5
	flat_load_b64 v[2:3], v[2:3] offset:8
.LBB7_2:
	s_and_b32 s4, s0, exec_lo
	s_cselect_b32 s1, s1, s9
	v_cndmask_b32_e64 v4, s8, v4, s0
	v_dual_mov_b32 v5, s1 :: v_dual_mov_b32 v6, s10
	v_mov_b32_e32 v7, s11
	s_and_not1_b32 vcc_lo, exec_lo, s6
	flat_load_b64 v[4:5], v[4:5]
	s_cbranch_vccnz .LBB7_4
; %bb.3:
	v_dual_mov_b32 v6, s8 :: v_dual_mov_b32 v7, s9
	flat_load_b64 v[6:7], v[6:7] offset:8
.LBB7_4:
	s_waitcnt vmcnt(1) lgkmcnt(1)
	v_cmp_eq_f64_e32 vcc_lo, 1.0, v[0:1]
	v_cmp_eq_f64_e64 s0, 0, v[2:3]
	s_delay_alu instid0(VALU_DEP_1)
	s_and_b32 s4, vcc_lo, s0
	s_mov_b32 s0, -1
	s_and_saveexec_b32 s1, s4
	s_cbranch_execz .LBB7_6
; %bb.5:
	s_waitcnt vmcnt(0) lgkmcnt(0)
	v_cmp_neq_f64_e32 vcc_lo, 0, v[4:5]
	v_cmp_neq_f64_e64 s0, 0, v[6:7]
	s_delay_alu instid0(VALU_DEP_1) | instskip(NEXT) | instid1(SALU_CYCLE_1)
	s_or_b32 s0, vcc_lo, s0
	s_or_not1_b32 s0, s0, exec_lo
.LBB7_6:
	s_or_b32 exec_lo, exec_lo, s1
	s_and_saveexec_b32 s1, s0
	s_cbranch_execz .LBB7_9
; %bb.7:
	s_load_b64 s[0:1], s[2:3], 0x0
	v_lshl_or_b32 v8, s15, 9, v8
	v_mov_b32_e32 v9, 0
	s_waitcnt lgkmcnt(0)
	s_delay_alu instid0(VALU_DEP_1)
	v_cmp_gt_i64_e32 vcc_lo, s[0:1], v[8:9]
	s_and_b32 exec_lo, exec_lo, vcc_lo
	s_cbranch_execz .LBB7_9
; %bb.8:
	s_clause 0x1
	s_load_b128 s[4:7], s[2:3], 0x8
	s_load_b64 s[0:1], s[2:3], 0x18
	v_lshlrev_b64 v[10:11], 3, v[8:9]
	v_lshlrev_b64 v[8:9], 4, v[8:9]
	s_waitcnt lgkmcnt(0)
	s_delay_alu instid0(VALU_DEP_2) | instskip(NEXT) | instid1(VALU_DEP_3)
	v_add_co_u32 v10, vcc_lo, s6, v10
	v_add_co_ci_u32_e32 v11, vcc_lo, s7, v11, vcc_lo
	global_load_b64 v[10:11], v[10:11], off
	s_waitcnt vmcnt(0)
	v_sub_co_u32 v10, vcc_lo, v10, s12
	v_subrev_co_ci_u32_e32 v11, vcc_lo, 0, v11, vcc_lo
	v_add_co_u32 v16, vcc_lo, s4, v8
	v_add_co_ci_u32_e32 v17, vcc_lo, s5, v9, vcc_lo
	s_delay_alu instid0(VALU_DEP_3) | instskip(NEXT) | instid1(VALU_DEP_1)
	v_lshlrev_b64 v[10:11], 4, v[10:11]
	v_add_co_u32 v18, vcc_lo, s0, v10
	s_delay_alu instid0(VALU_DEP_2)
	v_add_co_ci_u32_e32 v19, vcc_lo, s1, v11, vcc_lo
	global_load_b128 v[8:11], v[16:17], off
	global_load_b128 v[12:15], v[18:19], off
	s_waitcnt vmcnt(1)
	v_mul_f64 v[20:21], v[10:11], -v[2:3]
	v_mul_f64 v[22:23], v[0:1], v[10:11]
	v_mul_f64 v[24:25], v[10:11], -v[6:7]
	v_mul_f64 v[10:11], v[4:5], v[10:11]
	s_waitcnt vmcnt(0)
	v_mul_f64 v[26:27], v[14:15], -v[6:7]
	v_mul_f64 v[28:29], v[4:5], v[14:15]
	v_mul_f64 v[30:31], v[14:15], -v[2:3]
	v_mul_f64 v[14:15], v[0:1], v[14:15]
	v_fma_f64 v[20:21], v[0:1], v[8:9], v[20:21]
	v_fma_f64 v[22:23], v[2:3], v[8:9], v[22:23]
	;; [unrolled: 1-line block ×8, first 2 shown]
	s_delay_alu instid0(VALU_DEP_4) | instskip(NEXT) | instid1(VALU_DEP_4)
	v_add_f64 v[0:1], v[20:21], v[4:5]
	v_add_f64 v[2:3], v[22:23], v[6:7]
	s_delay_alu instid0(VALU_DEP_4) | instskip(NEXT) | instid1(VALU_DEP_4)
	v_add_f64 v[4:5], v[10:11], -v[24:25]
	v_add_f64 v[6:7], v[12:13], -v[8:9]
	global_store_b128 v[16:17], v[0:3], off
	global_store_b128 v[18:19], v[4:7], off
.LBB7_9:
	s_nop 0
	s_sendmsg sendmsg(MSG_DEALLOC_VGPRS)
	s_endpgm
	.section	.rodata,"a",@progbits
	.p2align	6, 0x0
	.amdhsa_kernel _ZN9rocsparseL11roti_kernelILj512El21rocsparse_complex_numIdEEEvT0_PT1_PKS3_S5_NS_24const_host_device_scalarIS4_EES9_21rocsparse_index_base_b
		.amdhsa_group_segment_fixed_size 8192
		.amdhsa_private_segment_fixed_size 0
		.amdhsa_kernarg_size 72
		.amdhsa_user_sgpr_count 15
		.amdhsa_user_sgpr_dispatch_ptr 1
		.amdhsa_user_sgpr_queue_ptr 0
		.amdhsa_user_sgpr_kernarg_segment_ptr 1
		.amdhsa_user_sgpr_dispatch_id 0
		.amdhsa_user_sgpr_private_segment_size 0
		.amdhsa_wavefront_size32 1
		.amdhsa_uses_dynamic_stack 0
		.amdhsa_enable_private_segment 0
		.amdhsa_system_sgpr_workgroup_id_x 1
		.amdhsa_system_sgpr_workgroup_id_y 0
		.amdhsa_system_sgpr_workgroup_id_z 0
		.amdhsa_system_sgpr_workgroup_info 0
		.amdhsa_system_vgpr_workitem_id 2
		.amdhsa_next_free_vgpr 32
		.amdhsa_next_free_sgpr 18
		.amdhsa_reserve_vcc 1
		.amdhsa_float_round_mode_32 0
		.amdhsa_float_round_mode_16_64 0
		.amdhsa_float_denorm_mode_32 3
		.amdhsa_float_denorm_mode_16_64 3
		.amdhsa_dx10_clamp 1
		.amdhsa_ieee_mode 1
		.amdhsa_fp16_overflow 0
		.amdhsa_workgroup_processor_mode 1
		.amdhsa_memory_ordered 1
		.amdhsa_forward_progress 0
		.amdhsa_shared_vgpr_count 0
		.amdhsa_exception_fp_ieee_invalid_op 0
		.amdhsa_exception_fp_denorm_src 0
		.amdhsa_exception_fp_ieee_div_zero 0
		.amdhsa_exception_fp_ieee_overflow 0
		.amdhsa_exception_fp_ieee_underflow 0
		.amdhsa_exception_fp_ieee_inexact 0
		.amdhsa_exception_int_div_zero 0
	.end_amdhsa_kernel
	.section	.text._ZN9rocsparseL11roti_kernelILj512El21rocsparse_complex_numIdEEEvT0_PT1_PKS3_S5_NS_24const_host_device_scalarIS4_EES9_21rocsparse_index_base_b,"axG",@progbits,_ZN9rocsparseL11roti_kernelILj512El21rocsparse_complex_numIdEEEvT0_PT1_PKS3_S5_NS_24const_host_device_scalarIS4_EES9_21rocsparse_index_base_b,comdat
.Lfunc_end7:
	.size	_ZN9rocsparseL11roti_kernelILj512El21rocsparse_complex_numIdEEEvT0_PT1_PKS3_S5_NS_24const_host_device_scalarIS4_EES9_21rocsparse_index_base_b, .Lfunc_end7-_ZN9rocsparseL11roti_kernelILj512El21rocsparse_complex_numIdEEEvT0_PT1_PKS3_S5_NS_24const_host_device_scalarIS4_EES9_21rocsparse_index_base_b
                                        ; -- End function
	.section	.AMDGPU.csdata,"",@progbits
; Kernel info:
; codeLenInByte = 720
; NumSgprs: 20
; NumVgprs: 32
; ScratchSize: 0
; MemoryBound: 0
; FloatMode: 240
; IeeeMode: 1
; LDSByteSize: 8192 bytes/workgroup (compile time only)
; SGPRBlocks: 2
; VGPRBlocks: 3
; NumSGPRsForWavesPerEU: 20
; NumVGPRsForWavesPerEU: 32
; Occupancy: 16
; WaveLimiterHint : 1
; COMPUTE_PGM_RSRC2:SCRATCH_EN: 0
; COMPUTE_PGM_RSRC2:USER_SGPR: 15
; COMPUTE_PGM_RSRC2:TRAP_HANDLER: 0
; COMPUTE_PGM_RSRC2:TGID_X_EN: 1
; COMPUTE_PGM_RSRC2:TGID_Y_EN: 0
; COMPUTE_PGM_RSRC2:TGID_Z_EN: 0
; COMPUTE_PGM_RSRC2:TIDIG_COMP_CNT: 2
	.text
	.p2alignl 7, 3214868480
	.fill 96, 4, 3214868480
	.type	__hip_cuid_733db565c6e0fc34,@object ; @__hip_cuid_733db565c6e0fc34
	.section	.bss,"aw",@nobits
	.globl	__hip_cuid_733db565c6e0fc34
__hip_cuid_733db565c6e0fc34:
	.byte	0                               ; 0x0
	.size	__hip_cuid_733db565c6e0fc34, 1

	.ident	"AMD clang version 19.0.0git (https://github.com/RadeonOpenCompute/llvm-project roc-6.4.0 25133 c7fe45cf4b819c5991fe208aaa96edf142730f1d)"
	.section	".note.GNU-stack","",@progbits
	.addrsig
	.addrsig_sym __hip_cuid_733db565c6e0fc34
	.amdgpu_metadata
---
amdhsa.kernels:
  - .args:
      - .offset:         0
        .size:           4
        .value_kind:     by_value
      - .address_space:  global
        .offset:         8
        .size:           8
        .value_kind:     global_buffer
      - .actual_access:  read_only
        .address_space:  global
        .offset:         16
        .size:           8
        .value_kind:     global_buffer
      - .address_space:  global
        .offset:         24
        .size:           8
        .value_kind:     global_buffer
      - .offset:         32
        .size:           8
        .value_kind:     by_value
      - .offset:         40
        .size:           8
        .value_kind:     by_value
      - .offset:         48
        .size:           4
        .value_kind:     by_value
      - .offset:         52
        .size:           1
        .value_kind:     by_value
    .group_segment_fixed_size: 0
    .kernarg_segment_align: 8
    .kernarg_segment_size: 56
    .language:       OpenCL C
    .language_version:
      - 2
      - 0
    .max_flat_workgroup_size: 512
    .name:           _ZN9rocsparseL11roti_kernelILj512EifEEvT0_PT1_PKS1_S3_NS_24const_host_device_scalarIS2_EES7_21rocsparse_index_base_b
    .private_segment_fixed_size: 0
    .sgpr_count:     18
    .sgpr_spill_count: 0
    .symbol:         _ZN9rocsparseL11roti_kernelILj512EifEEvT0_PT1_PKS1_S3_NS_24const_host_device_scalarIS2_EES7_21rocsparse_index_base_b.kd
    .uniform_work_group_size: 1
    .uses_dynamic_stack: false
    .vgpr_count:     8
    .vgpr_spill_count: 0
    .wavefront_size: 32
    .workgroup_processor_mode: 1
  - .args:
      - .offset:         0
        .size:           4
        .value_kind:     by_value
      - .address_space:  global
        .offset:         8
        .size:           8
        .value_kind:     global_buffer
      - .actual_access:  read_only
        .address_space:  global
        .offset:         16
        .size:           8
        .value_kind:     global_buffer
      - .address_space:  global
        .offset:         24
        .size:           8
        .value_kind:     global_buffer
      - .offset:         32
        .size:           8
        .value_kind:     by_value
      - .offset:         40
        .size:           8
        .value_kind:     by_value
      - .offset:         48
        .size:           4
        .value_kind:     by_value
      - .offset:         52
        .size:           1
        .value_kind:     by_value
    .group_segment_fixed_size: 0
    .kernarg_segment_align: 8
    .kernarg_segment_size: 56
    .language:       OpenCL C
    .language_version:
      - 2
      - 0
    .max_flat_workgroup_size: 512
    .name:           _ZN9rocsparseL11roti_kernelILj512Ei21rocsparse_complex_numIfEEEvT0_PT1_PKS3_S5_NS_24const_host_device_scalarIS4_EES9_21rocsparse_index_base_b
    .private_segment_fixed_size: 0
    .sgpr_count:     18
    .sgpr_spill_count: 0
    .symbol:         _ZN9rocsparseL11roti_kernelILj512Ei21rocsparse_complex_numIfEEEvT0_PT1_PKS3_S5_NS_24const_host_device_scalarIS4_EES9_21rocsparse_index_base_b.kd
    .uniform_work_group_size: 1
    .uses_dynamic_stack: false
    .vgpr_count:     18
    .vgpr_spill_count: 0
    .wavefront_size: 32
    .workgroup_processor_mode: 1
  - .args:
      - .offset:         0
        .size:           4
        .value_kind:     by_value
      - .address_space:  global
        .offset:         8
        .size:           8
        .value_kind:     global_buffer
      - .actual_access:  read_only
        .address_space:  global
        .offset:         16
        .size:           8
        .value_kind:     global_buffer
      - .address_space:  global
        .offset:         24
        .size:           8
        .value_kind:     global_buffer
      - .offset:         32
        .size:           8
        .value_kind:     by_value
      - .offset:         40
        .size:           8
        .value_kind:     by_value
      - .offset:         48
        .size:           4
        .value_kind:     by_value
      - .offset:         52
        .size:           1
        .value_kind:     by_value
    .group_segment_fixed_size: 0
    .kernarg_segment_align: 8
    .kernarg_segment_size: 56
    .language:       OpenCL C
    .language_version:
      - 2
      - 0
    .max_flat_workgroup_size: 512
    .name:           _ZN9rocsparseL11roti_kernelILj512EidEEvT0_PT1_PKS1_S3_NS_24const_host_device_scalarIS2_EES7_21rocsparse_index_base_b
    .private_segment_fixed_size: 0
    .sgpr_count:     18
    .sgpr_spill_count: 0
    .symbol:         _ZN9rocsparseL11roti_kernelILj512EidEEvT0_PT1_PKS1_S3_NS_24const_host_device_scalarIS2_EES7_21rocsparse_index_base_b.kd
    .uniform_work_group_size: 1
    .uses_dynamic_stack: false
    .vgpr_count:     15
    .vgpr_spill_count: 0
    .wavefront_size: 32
    .workgroup_processor_mode: 1
  - .args:
      - .offset:         0
        .size:           4
        .value_kind:     by_value
      - .address_space:  global
        .offset:         8
        .size:           8
        .value_kind:     global_buffer
      - .actual_access:  read_only
        .address_space:  global
        .offset:         16
        .size:           8
        .value_kind:     global_buffer
      - .address_space:  global
        .offset:         24
        .size:           8
        .value_kind:     global_buffer
      - .offset:         32
        .size:           16
        .value_kind:     by_value
      - .offset:         48
        .size:           16
        .value_kind:     by_value
      - .offset:         64
        .size:           4
        .value_kind:     by_value
      - .offset:         68
        .size:           1
        .value_kind:     by_value
    .group_segment_fixed_size: 8192
    .kernarg_segment_align: 8
    .kernarg_segment_size: 72
    .language:       OpenCL C
    .language_version:
      - 2
      - 0
    .max_flat_workgroup_size: 512
    .name:           _ZN9rocsparseL11roti_kernelILj512Ei21rocsparse_complex_numIdEEEvT0_PT1_PKS3_S5_NS_24const_host_device_scalarIS4_EES9_21rocsparse_index_base_b
    .private_segment_fixed_size: 0
    .sgpr_count:     20
    .sgpr_spill_count: 0
    .symbol:         _ZN9rocsparseL11roti_kernelILj512Ei21rocsparse_complex_numIdEEEvT0_PT1_PKS3_S5_NS_24const_host_device_scalarIS4_EES9_21rocsparse_index_base_b.kd
    .uniform_work_group_size: 1
    .uses_dynamic_stack: false
    .vgpr_count:     32
    .vgpr_spill_count: 0
    .wavefront_size: 32
    .workgroup_processor_mode: 1
  - .args:
      - .offset:         0
        .size:           8
        .value_kind:     by_value
      - .address_space:  global
        .offset:         8
        .size:           8
        .value_kind:     global_buffer
      - .actual_access:  read_only
        .address_space:  global
        .offset:         16
        .size:           8
        .value_kind:     global_buffer
      - .address_space:  global
        .offset:         24
        .size:           8
        .value_kind:     global_buffer
      - .offset:         32
        .size:           8
        .value_kind:     by_value
      - .offset:         40
        .size:           8
        .value_kind:     by_value
      - .offset:         48
        .size:           4
        .value_kind:     by_value
      - .offset:         52
        .size:           1
        .value_kind:     by_value
    .group_segment_fixed_size: 0
    .kernarg_segment_align: 8
    .kernarg_segment_size: 56
    .language:       OpenCL C
    .language_version:
      - 2
      - 0
    .max_flat_workgroup_size: 512
    .name:           _ZN9rocsparseL11roti_kernelILj512ElfEEvT0_PT1_PKS1_S3_NS_24const_host_device_scalarIS2_EES7_21rocsparse_index_base_b
    .private_segment_fixed_size: 0
    .sgpr_count:     18
    .sgpr_spill_count: 0
    .symbol:         _ZN9rocsparseL11roti_kernelILj512ElfEEvT0_PT1_PKS1_S3_NS_24const_host_device_scalarIS2_EES7_21rocsparse_index_base_b.kd
    .uniform_work_group_size: 1
    .uses_dynamic_stack: false
    .vgpr_count:     8
    .vgpr_spill_count: 0
    .wavefront_size: 32
    .workgroup_processor_mode: 1
  - .args:
      - .offset:         0
        .size:           8
        .value_kind:     by_value
      - .address_space:  global
        .offset:         8
        .size:           8
        .value_kind:     global_buffer
      - .actual_access:  read_only
        .address_space:  global
        .offset:         16
        .size:           8
        .value_kind:     global_buffer
      - .address_space:  global
        .offset:         24
        .size:           8
        .value_kind:     global_buffer
      - .offset:         32
        .size:           8
        .value_kind:     by_value
      - .offset:         40
        .size:           8
        .value_kind:     by_value
      - .offset:         48
        .size:           4
        .value_kind:     by_value
      - .offset:         52
        .size:           1
        .value_kind:     by_value
    .group_segment_fixed_size: 0
    .kernarg_segment_align: 8
    .kernarg_segment_size: 56
    .language:       OpenCL C
    .language_version:
      - 2
      - 0
    .max_flat_workgroup_size: 512
    .name:           _ZN9rocsparseL11roti_kernelILj512El21rocsparse_complex_numIfEEEvT0_PT1_PKS3_S5_NS_24const_host_device_scalarIS4_EES9_21rocsparse_index_base_b
    .private_segment_fixed_size: 0
    .sgpr_count:     18
    .sgpr_spill_count: 0
    .symbol:         _ZN9rocsparseL11roti_kernelILj512El21rocsparse_complex_numIfEEEvT0_PT1_PKS3_S5_NS_24const_host_device_scalarIS4_EES9_21rocsparse_index_base_b.kd
    .uniform_work_group_size: 1
    .uses_dynamic_stack: false
    .vgpr_count:     18
    .vgpr_spill_count: 0
    .wavefront_size: 32
    .workgroup_processor_mode: 1
  - .args:
      - .offset:         0
        .size:           8
        .value_kind:     by_value
      - .address_space:  global
        .offset:         8
        .size:           8
        .value_kind:     global_buffer
      - .actual_access:  read_only
        .address_space:  global
        .offset:         16
        .size:           8
        .value_kind:     global_buffer
      - .address_space:  global
        .offset:         24
        .size:           8
        .value_kind:     global_buffer
      - .offset:         32
        .size:           8
        .value_kind:     by_value
      - .offset:         40
        .size:           8
        .value_kind:     by_value
      - .offset:         48
        .size:           4
        .value_kind:     by_value
      - .offset:         52
        .size:           1
        .value_kind:     by_value
    .group_segment_fixed_size: 0
    .kernarg_segment_align: 8
    .kernarg_segment_size: 56
    .language:       OpenCL C
    .language_version:
      - 2
      - 0
    .max_flat_workgroup_size: 512
    .name:           _ZN9rocsparseL11roti_kernelILj512EldEEvT0_PT1_PKS1_S3_NS_24const_host_device_scalarIS2_EES7_21rocsparse_index_base_b
    .private_segment_fixed_size: 0
    .sgpr_count:     18
    .sgpr_spill_count: 0
    .symbol:         _ZN9rocsparseL11roti_kernelILj512EldEEvT0_PT1_PKS1_S3_NS_24const_host_device_scalarIS2_EES7_21rocsparse_index_base_b.kd
    .uniform_work_group_size: 1
    .uses_dynamic_stack: false
    .vgpr_count:     15
    .vgpr_spill_count: 0
    .wavefront_size: 32
    .workgroup_processor_mode: 1
  - .args:
      - .offset:         0
        .size:           8
        .value_kind:     by_value
      - .address_space:  global
        .offset:         8
        .size:           8
        .value_kind:     global_buffer
      - .actual_access:  read_only
        .address_space:  global
        .offset:         16
        .size:           8
        .value_kind:     global_buffer
      - .address_space:  global
        .offset:         24
        .size:           8
        .value_kind:     global_buffer
      - .offset:         32
        .size:           16
        .value_kind:     by_value
      - .offset:         48
        .size:           16
        .value_kind:     by_value
      - .offset:         64
        .size:           4
        .value_kind:     by_value
      - .offset:         68
        .size:           1
        .value_kind:     by_value
    .group_segment_fixed_size: 8192
    .kernarg_segment_align: 8
    .kernarg_segment_size: 72
    .language:       OpenCL C
    .language_version:
      - 2
      - 0
    .max_flat_workgroup_size: 512
    .name:           _ZN9rocsparseL11roti_kernelILj512El21rocsparse_complex_numIdEEEvT0_PT1_PKS3_S5_NS_24const_host_device_scalarIS4_EES9_21rocsparse_index_base_b
    .private_segment_fixed_size: 0
    .sgpr_count:     20
    .sgpr_spill_count: 0
    .symbol:         _ZN9rocsparseL11roti_kernelILj512El21rocsparse_complex_numIdEEEvT0_PT1_PKS3_S5_NS_24const_host_device_scalarIS4_EES9_21rocsparse_index_base_b.kd
    .uniform_work_group_size: 1
    .uses_dynamic_stack: false
    .vgpr_count:     32
    .vgpr_spill_count: 0
    .wavefront_size: 32
    .workgroup_processor_mode: 1
amdhsa.target:   amdgcn-amd-amdhsa--gfx1100
amdhsa.version:
  - 1
  - 2
...

	.end_amdgpu_metadata
